;; amdgpu-corpus repo=ROCm/rocFFT kind=compiled arch=gfx1201 opt=O3
	.text
	.amdgcn_target "amdgcn-amd-amdhsa--gfx1201"
	.amdhsa_code_object_version 6
	.protected	fft_rtc_fwd_len289_factors_17_17_wgs_119_tpt_17_half_op_CI_CI_sbrc_unaligned_dirReg ; -- Begin function fft_rtc_fwd_len289_factors_17_17_wgs_119_tpt_17_half_op_CI_CI_sbrc_unaligned_dirReg
	.globl	fft_rtc_fwd_len289_factors_17_17_wgs_119_tpt_17_half_op_CI_CI_sbrc_unaligned_dirReg
	.p2align	8
	.type	fft_rtc_fwd_len289_factors_17_17_wgs_119_tpt_17_half_op_CI_CI_sbrc_unaligned_dirReg,@function
fft_rtc_fwd_len289_factors_17_17_wgs_119_tpt_17_half_op_CI_CI_sbrc_unaligned_dirReg: ; @fft_rtc_fwd_len289_factors_17_17_wgs_119_tpt_17_half_op_CI_CI_sbrc_unaligned_dirReg
; %bb.0:
	s_clause 0x1
	s_load_b256 s[4:11], s[0:1], 0x0
	s_load_b64 s[26:27], s[0:1], 0x20
	s_mov_b64 s[36:37], 2
	s_wait_kmcnt 0x0
	s_load_b32 s33, s[8:9], 0x8
	s_load_b128 s[16:19], s[10:11], 0x0
	s_load_b128 s[12:15], s[26:27], 0x0
	s_wait_kmcnt 0x0
	s_add_co_i32 s2, s33, -1
	s_delay_alu instid0(SALU_CYCLE_1) | instskip(NEXT) | instid1(SALU_CYCLE_1)
	s_mul_hi_u32 s3, s2, 0x24924925
	s_sub_co_i32 s2, s2, s3
	s_delay_alu instid0(SALU_CYCLE_1) | instskip(NEXT) | instid1(SALU_CYCLE_1)
	s_lshr_b32 s2, s2, 1
	s_add_co_i32 s2, s2, s3
	s_delay_alu instid0(SALU_CYCLE_1) | instskip(NEXT) | instid1(SALU_CYCLE_1)
	s_lshr_b32 s2, s2, 2
	s_add_co_i32 s42, s2, 1
	s_delay_alu instid0(SALU_CYCLE_1) | instskip(SKIP_1) | instid1(SALU_CYCLE_2)
	s_cvt_f32_u32 s2, s42
	s_sub_co_i32 s3, 0, s42
	v_rcp_iflag_f32_e32 v1, s2
	s_delay_alu instid0(TRANS32_DEP_1) | instskip(NEXT) | instid1(VALU_DEP_1)
	v_readfirstlane_b32 s2, v1
	s_mul_f32 s2, s2, 0x4f7ffffe
	s_wait_alu 0xfffe
	s_delay_alu instid0(SALU_CYCLE_2) | instskip(SKIP_1) | instid1(SALU_CYCLE_2)
	s_cvt_u32_f32 s2, s2
	s_wait_alu 0xfffe
	s_mul_i32 s3, s3, s2
	s_wait_alu 0xfffe
	s_mul_hi_u32 s3, s2, s3
	s_wait_alu 0xfffe
	s_add_co_i32 s2, s2, s3
	s_wait_alu 0xfffe
	s_mul_hi_u32 s2, ttmp9, s2
	s_wait_alu 0xfffe
	s_mul_i32 s3, s2, s42
	s_add_co_i32 s15, s2, 1
	s_wait_alu 0xfffe
	s_sub_co_i32 s3, ttmp9, s3
	s_wait_alu 0xfffe
	s_sub_co_i32 s19, s3, s42
	s_cmp_ge_u32 s3, s42
	s_cselect_b32 s2, s15, s2
	s_cselect_b32 s3, s19, s3
	s_wait_alu 0xfffe
	s_add_co_i32 s15, s2, 1
	s_cmp_ge_u32 s3, s42
	s_mov_b32 s3, 0
	s_cselect_b32 s22, s15, s2
	v_cmp_gt_u64_e64 s2, s[6:7], 2
	s_mul_i32 s15, s22, s42
	s_wait_alu 0xfffe
	s_mov_b32 s25, s3
	s_sub_co_i32 s15, ttmp9, s15
	s_delay_alu instid0(SALU_CYCLE_1)
	s_mul_i32 s24, s15, 7
	s_and_b32 vcc_lo, exec_lo, s2
	s_mul_i32 s2, s24, s18
	s_mul_u64 s[20:21], s[12:13], s[24:25]
	s_cbranch_vccz .LBB0_8
; %bb.1:
	s_mov_b32 s30, ttmp9
	s_mov_b32 s31, s3
	s_mov_b32 s34, 3
	s_wait_alu 0xfffe
	s_mov_b64 s[28:29], s[2:3]
	s_mov_b32 s2, s22
.LBB0_2:                                ; =>This Inner Loop Header: Depth=1
	s_lshl_b64 s[36:37], s[36:37], 3
	s_mov_b32 s38, s3
	s_add_nc_u64 s[22:23], s[8:9], s[36:37]
	s_load_b64 s[22:23], s[22:23], 0x0
	s_wait_kmcnt 0x0
	s_mov_b32 s39, s23
	s_delay_alu instid0(SALU_CYCLE_1)
	s_cmp_lg_u64 s[38:39], 0
	s_cbranch_scc0 .LBB0_7
; %bb.3:                                ;   in Loop: Header=BB0_2 Depth=1
	s_cvt_f32_u32 s15, s22
	s_cvt_f32_u32 s19, s23
	s_sub_nc_u64 s[44:45], 0, s[22:23]
	s_mov_b32 s39, 0
	s_mov_b32 s49, s3
	s_wait_alu 0xfffe
	s_fmamk_f32 s15, s19, 0x4f800000, s15
	s_wait_alu 0xfffe
	s_delay_alu instid0(SALU_CYCLE_2) | instskip(NEXT) | instid1(TRANS32_DEP_1)
	v_s_rcp_f32 s15, s15
	s_mul_f32 s15, s15, 0x5f7ffffc
	s_wait_alu 0xfffe
	s_delay_alu instid0(SALU_CYCLE_2) | instskip(NEXT) | instid1(SALU_CYCLE_3)
	s_mul_f32 s19, s15, 0x2f800000
	s_trunc_f32 s19, s19
	s_delay_alu instid0(SALU_CYCLE_3) | instskip(SKIP_2) | instid1(SALU_CYCLE_1)
	s_fmamk_f32 s15, s19, 0xcf800000, s15
	s_cvt_u32_f32 s41, s19
	s_wait_alu 0xfffe
	s_cvt_u32_f32 s40, s15
	s_wait_alu 0xfffe
	s_delay_alu instid0(SALU_CYCLE_2)
	s_mul_u64 s[46:47], s[44:45], s[40:41]
	s_wait_alu 0xfffe
	s_mul_hi_u32 s51, s40, s47
	s_mul_i32 s50, s40, s47
	s_mul_hi_u32 s38, s40, s46
	s_mul_i32 s19, s41, s46
	s_add_nc_u64 s[50:51], s[38:39], s[50:51]
	s_mul_hi_u32 s15, s41, s46
	s_mul_hi_u32 s25, s41, s47
	s_add_co_u32 s19, s50, s19
	s_wait_alu 0xfffe
	s_add_co_ci_u32 s48, s51, s15
	s_mul_i32 s46, s41, s47
	s_add_co_ci_u32 s47, s25, 0
	s_wait_alu 0xfffe
	s_add_nc_u64 s[46:47], s[48:49], s[46:47]
	s_wait_alu 0xfffe
	v_add_co_u32 v1, s15, s40, s46
	s_delay_alu instid0(VALU_DEP_1) | instskip(SKIP_1) | instid1(VALU_DEP_1)
	s_cmp_lg_u32 s15, 0
	s_add_co_ci_u32 s41, s41, s47
	v_readfirstlane_b32 s40, v1
	s_mov_b32 s47, s3
	s_wait_alu 0xfffe
	s_delay_alu instid0(VALU_DEP_1)
	s_mul_u64 s[44:45], s[44:45], s[40:41]
	s_wait_alu 0xfffe
	s_mul_hi_u32 s49, s40, s45
	s_mul_i32 s48, s40, s45
	s_mul_hi_u32 s38, s40, s44
	s_mul_i32 s19, s41, s44
	s_add_nc_u64 s[48:49], s[38:39], s[48:49]
	s_mul_hi_u32 s15, s41, s44
	s_mul_hi_u32 s25, s41, s45
	s_add_co_u32 s19, s48, s19
	s_wait_alu 0xfffe
	s_add_co_ci_u32 s46, s49, s15
	s_mul_i32 s44, s41, s45
	s_add_co_ci_u32 s45, s25, 0
	s_wait_alu 0xfffe
	s_add_nc_u64 s[44:45], s[46:47], s[44:45]
	s_mov_b32 s46, s3
	s_wait_alu 0xfffe
	v_add_co_u32 v1, s15, v1, s44
	s_delay_alu instid0(VALU_DEP_1) | instskip(SKIP_1) | instid1(VALU_DEP_1)
	s_cmp_lg_u32 s15, 0
	s_add_co_ci_u32 s19, s41, s45
	v_readfirstlane_b32 s15, v1
	s_mul_hi_u32 s45, s2, s19
	s_mul_i32 s44, s2, s19
	s_mov_b32 s41, s3
	s_delay_alu instid0(VALU_DEP_1)
	s_mul_hi_u32 s38, s2, s15
	s_wait_alu 0xfffe
	s_add_nc_u64 s[44:45], s[38:39], s[44:45]
	s_wait_alu 0xfffe
	s_mov_b32 s40, s45
	s_wait_alu 0xfffe
	s_or_b64 s[40:41], s[40:41], s[46:47]
	s_mov_b32 s40, s45
	s_wait_alu 0xfffe
	s_mul_u64 s[46:47], s[22:23], s[40:41]
	s_add_nc_u64 s[48:49], s[40:41], 1
	s_wait_alu 0xfffe
	v_sub_co_u32 v1, s15, s2, s46
	s_sub_co_i32 s19, 0, s47
	s_cmp_lg_u32 s15, 0
	s_add_nc_u64 s[50:51], s[40:41], 2
	s_delay_alu instid0(VALU_DEP_1) | instskip(SKIP_2) | instid1(VALU_DEP_1)
	v_sub_co_u32 v2, s25, v1, s22
	s_sub_co_ci_u32 s19, s19, s23
	s_cmp_lg_u32 s25, 0
	v_readfirstlane_b32 s25, v2
	s_sub_co_ci_u32 s19, s19, 0
	s_delay_alu instid0(SALU_CYCLE_1) | instskip(SKIP_1) | instid1(VALU_DEP_1)
	s_cmp_ge_u32 s19, s23
	s_cselect_b32 s35, -1, 0
	s_cmp_ge_u32 s25, s22
	s_cselect_b32 s25, -1, 0
	s_cmp_eq_u32 s19, s23
	s_wait_alu 0xfffe
	s_cselect_b32 s19, s25, s35
	s_delay_alu instid0(SALU_CYCLE_1)
	s_cmp_lg_u32 s19, 0
	s_cselect_b32 s19, s50, s48
	s_cselect_b32 s25, s51, s49
	s_cmp_lg_u32 s15, 0
	v_readfirstlane_b32 s15, v1
	s_sub_co_ci_u32 s35, 0, s47
	s_wait_alu 0xfffe
	s_cmp_ge_u32 s35, s23
	s_cselect_b32 s38, -1, 0
	s_cmp_ge_u32 s15, s22
	s_cselect_b32 s15, -1, 0
	s_cmp_eq_u32 s35, s23
	s_wait_alu 0xfffe
	s_cselect_b32 s15, s15, s38
	s_wait_alu 0xfffe
	s_cmp_lg_u32 s15, 0
	s_cselect_b32 s41, s25, s41
	s_cselect_b32 s40, s19, s45
	s_cbranch_execnz .LBB0_5
.LBB0_4:                                ;   in Loop: Header=BB0_2 Depth=1
	v_cvt_f32_u32_e32 v1, s22
	s_sub_co_i32 s19, 0, s22
	s_mov_b32 s41, s3
	s_delay_alu instid0(VALU_DEP_1) | instskip(NEXT) | instid1(TRANS32_DEP_1)
	v_rcp_iflag_f32_e32 v1, v1
	v_mul_f32_e32 v1, 0x4f7ffffe, v1
	s_delay_alu instid0(VALU_DEP_1) | instskip(NEXT) | instid1(VALU_DEP_1)
	v_cvt_u32_f32_e32 v1, v1
	v_readfirstlane_b32 s15, v1
	s_delay_alu instid0(VALU_DEP_1) | instskip(NEXT) | instid1(SALU_CYCLE_1)
	s_mul_i32 s19, s19, s15
	s_mul_hi_u32 s19, s15, s19
	s_delay_alu instid0(SALU_CYCLE_1)
	s_add_co_i32 s15, s15, s19
	s_wait_alu 0xfffe
	s_mul_hi_u32 s15, s2, s15
	s_wait_alu 0xfffe
	s_mul_i32 s19, s15, s22
	s_add_co_i32 s25, s15, 1
	s_sub_co_i32 s19, s2, s19
	s_delay_alu instid0(SALU_CYCLE_1)
	s_sub_co_i32 s35, s19, s22
	s_cmp_ge_u32 s19, s22
	s_cselect_b32 s15, s25, s15
	s_wait_alu 0xfffe
	s_cselect_b32 s19, s35, s19
	s_add_co_i32 s25, s15, 1
	s_cmp_ge_u32 s19, s22
	s_cselect_b32 s40, s25, s15
.LBB0_5:                                ;   in Loop: Header=BB0_2 Depth=1
	s_add_nc_u64 s[38:39], s[10:11], s[36:37]
	s_add_nc_u64 s[36:37], s[26:27], s[36:37]
	s_load_b64 s[38:39], s[38:39], 0x0
	s_load_b64 s[44:45], s[36:37], 0x0
	s_mov_b32 s35, s3
	s_mul_u64 s[36:37], s[40:41], s[22:23]
	s_wait_alu 0xfffe
	v_cmp_ge_u64_e64 s15, s[34:35], s[6:7]
	s_mul_i32 s42, s42, s22
	s_sub_nc_u64 s[22:23], s[2:3], s[36:37]
	s_mov_b64 s[36:37], s[34:35]
	s_add_co_i32 s34, s34, 1
	s_delay_alu instid0(VALU_DEP_1)
	s_and_b32 vcc_lo, exec_lo, s15
	s_wait_kmcnt 0x0
	s_wait_alu 0xfffe
	s_mul_u64 s[38:39], s[38:39], s[22:23]
	s_mul_u64 s[22:23], s[44:45], s[22:23]
	s_add_nc_u64 s[28:29], s[38:39], s[28:29]
	s_wait_alu 0xfffe
	s_add_nc_u64 s[20:21], s[22:23], s[20:21]
	s_cbranch_vccnz .LBB0_9
; %bb.6:                                ;   in Loop: Header=BB0_2 Depth=1
	s_mov_b32 s2, s40
	s_branch .LBB0_2
.LBB0_7:                                ;   in Loop: Header=BB0_2 Depth=1
                                        ; implicit-def: $sgpr40_sgpr41
	s_branch .LBB0_4
.LBB0_8:
	s_wait_alu 0xfffe
	s_mov_b64 s[28:29], s[2:3]
	s_branch .LBB0_10
.LBB0_9:
	s_cvt_f32_u32 s2, s42
	s_sub_co_i32 s3, 0, s42
	s_wait_alu 0xfffe
	s_delay_alu instid0(SALU_CYCLE_1) | instskip(NEXT) | instid1(TRANS32_DEP_1)
	v_rcp_iflag_f32_e32 v1, s2
	v_readfirstlane_b32 s2, v1
	s_delay_alu instid0(VALU_DEP_1) | instskip(SKIP_1) | instid1(SALU_CYCLE_2)
	s_mul_f32 s2, s2, 0x4f7ffffe
	s_wait_alu 0xfffe
	s_cvt_u32_f32 s2, s2
	s_wait_alu 0xfffe
	s_delay_alu instid0(SALU_CYCLE_2)
	s_mul_i32 s3, s3, s2
	s_wait_alu 0xfffe
	s_mul_hi_u32 s8, s2, s3
	s_mov_b32 s3, 0
	s_add_co_i32 s2, s2, s8
	s_wait_alu 0xfffe
	s_mul_u64 s[2:3], s[30:31], s[2:3]
	s_wait_alu 0xfffe
	s_mul_i32 s2, s3, s42
	s_add_co_i32 s8, s3, 1
	s_wait_alu 0xfffe
	s_sub_co_i32 s2, ttmp9, s2
	s_wait_alu 0xfffe
	s_sub_co_i32 s9, s2, s42
	s_cmp_ge_u32 s2, s42
	s_cselect_b32 s3, s8, s3
	s_cselect_b32 s2, s9, s2
	s_wait_alu 0xfffe
	s_add_co_i32 s8, s3, 1
	s_cmp_ge_u32 s2, s42
	s_cselect_b32 s22, s8, s3
.LBB0_10:
	s_lshl_b64 s[6:7], s[6:7], 3
	s_load_b128 s[0:3], s[0:1], 0x58
	s_add_nc_u64 s[8:9], s[10:11], s[6:7]
	s_add_nc_u64 s[6:7], s[26:27], s[6:7]
	s_load_b64 s[8:9], s[8:9], 0x0
	s_load_b64 s[6:7], s[6:7], 0x0
	s_add_co_i32 s10, s24, 7
	s_mov_b32 s23, 0
	s_cmp_le_u32 s10, s33
	s_mov_b32 s10, -1
	s_cselect_b32 s15, -1, 0
	s_wait_alu 0xfffe
	s_and_b32 vcc_lo, exec_lo, s15
	s_wait_kmcnt 0x0
	s_mul_u64 s[8:9], s[8:9], s[22:23]
	s_delay_alu instid0(SALU_CYCLE_1)
	s_add_nc_u64 s[8:9], s[8:9], s[28:29]
	s_cbranch_vccnz .LBB0_14
; %bb.11:
	v_dual_mov_b32 v2, 0 :: v_dual_mov_b32 v3, v0
	s_lshl_b64 s[10:11], s[8:9], 2
	s_mov_b32 s19, s23
	s_add_nc_u64 s[10:11], s[0:1], s[10:11]
.LBB0_12:                               ; =>This Inner Loop Header: Depth=1
	s_delay_alu instid0(VALU_DEP_1) | instskip(NEXT) | instid1(VALU_DEP_1)
	v_and_b32_e32 v1, 0xffff, v3
	v_mul_u32_u24_e32 v1, 0xe2c5, v1
	s_delay_alu instid0(VALU_DEP_1) | instskip(NEXT) | instid1(VALU_DEP_1)
	v_lshrrev_b32_e32 v8, 24, v1
	v_mul_lo_u16 v1, 0x121, v8
	s_delay_alu instid0(VALU_DEP_1) | instskip(SKIP_1) | instid1(VALU_DEP_2)
	v_sub_nc_u16 v9, v3, v1
	v_add_nc_u32_e32 v3, 0x77, v3
	v_and_b32_e32 v6, 0xffff, v9
	s_delay_alu instid0(VALU_DEP_1) | instskip(NEXT) | instid1(VALU_DEP_1)
	v_mad_co_u64_u32 v[4:5], null, s16, v6, 0
	v_mov_b32_e32 v1, v5
	s_delay_alu instid0(VALU_DEP_1) | instskip(SKIP_1) | instid1(VALU_DEP_2)
	v_mad_co_u64_u32 v[5:6], null, s17, v6, v[1:2]
	v_mul_lo_u32 v1, s18, v8
	v_lshlrev_b64_e32 v[4:5], 2, v[4:5]
	s_delay_alu instid0(VALU_DEP_2) | instskip(NEXT) | instid1(VALU_DEP_2)
	v_lshlrev_b64_e32 v[6:7], 2, v[1:2]
	v_add_co_u32 v1, vcc_lo, s10, v4
	s_wait_alu 0xfffd
	s_delay_alu instid0(VALU_DEP_3) | instskip(NEXT) | instid1(VALU_DEP_2)
	v_add_co_ci_u32_e32 v5, vcc_lo, s11, v5, vcc_lo
	v_add_co_u32 v4, vcc_lo, v1, v6
	s_wait_alu 0xfffd
	s_delay_alu instid0(VALU_DEP_2) | instskip(SKIP_4) | instid1(VALU_DEP_1)
	v_add_co_ci_u32_e32 v5, vcc_lo, v5, v7, vcc_lo
	v_cmp_lt_u32_e32 vcc_lo, 0x7e6, v3
	global_load_b32 v1, v[4:5], off
	v_mad_u16 v4, v9, 7, v8
	s_or_b32 s19, vcc_lo, s19
	v_and_b32_e32 v4, 0xffff, v4
	s_delay_alu instid0(VALU_DEP_1)
	v_lshl_add_u32 v4, v4, 2, 0
	s_wait_loadcnt 0x0
	ds_store_b32 v4, v1
	s_wait_alu 0xfffe
	s_and_not1_b32 exec_lo, exec_lo, s19
	s_cbranch_execnz .LBB0_12
; %bb.13:
	s_or_b32 exec_lo, exec_lo, s19
	s_mov_b32 s10, 0
.LBB0_14:
	v_and_b32_e32 v3, 0xffff, v0
	s_wait_alu 0xfffe
	s_and_b32 vcc_lo, exec_lo, s10
	s_wait_alu 0xfffe
	s_cbranch_vccz .LBB0_16
; %bb.15:
	v_add_nc_u16 v5, v0, 0xee
	v_add_nc_u16 v4, v0, 0x77
	v_mad_co_u64_u32 v[11:12], null, s16, v3, 0
	v_add_nc_u16 v8, v0, 0x165
	s_delay_alu instid0(VALU_DEP_4) | instskip(NEXT) | instid1(VALU_DEP_4)
	v_dual_mov_b32 v2, 0 :: v_dual_and_b32 v1, 0xffff, v5
	v_and_b32_e32 v17, 0xffff, v4
	v_add_nc_u16 v25, v0, 0x253
	s_delay_alu instid0(VALU_DEP_4) | instskip(NEXT) | instid1(VALU_DEP_4)
	v_and_b32_e32 v6, 0xffff, v8
	v_mul_u32_u24_e32 v1, 0xe3, v1
	v_add_nc_u16 v19, v0, 0x1dc
	v_mad_co_u64_u32 v[13:14], null, s16, v17, 0
	s_lshl_b64 s[8:9], s[8:9], 2
	s_delay_alu instid0(VALU_DEP_3)
	v_lshrrev_b32_e32 v4, 16, v1
	v_mov_b32_e32 v1, v12
	v_mul_u32_u24_e32 v6, 0xe3, v6
	s_add_nc_u64 s[0:1], s[0:1], s[8:9]
	v_add_nc_u16 v28, v0, 0x2ca
	v_mul_lo_u16 v10, 0x121, v4
	v_add_nc_u16 v32, v0, 0x3b8
	v_lshrrev_b32_e32 v6, 16, v6
	v_add_nc_u16 v38, v0, 0x42f
	s_delay_alu instid0(VALU_DEP_4) | instskip(NEXT) | instid1(VALU_DEP_1)
	v_sub_nc_u16 v5, v5, v10
	v_and_b32_e32 v20, 0xffff, v5
	s_delay_alu instid0(VALU_DEP_1) | instskip(SKIP_1) | instid1(VALU_DEP_1)
	v_mad_co_u64_u32 v[15:16], null, s16, v20, 0
	v_and_b32_e32 v9, 0xffff, v25
	v_mul_u32_u24_e32 v22, 0xe3, v9
	v_mad_co_u64_u32 v[9:10], null, s17, v3, v[1:2]
	v_and_b32_e32 v7, 0xffff, v19
	v_mul_lo_u16 v1, 0x121, v6
	v_mov_b32_e32 v10, v14
	s_delay_alu instid0(VALU_DEP_4) | instskip(NEXT) | instid1(VALU_DEP_4)
	v_mov_b32_e32 v12, v9
	v_mul_u32_u24_e32 v7, 0xe3, v7
	s_delay_alu instid0(VALU_DEP_4) | instskip(NEXT) | instid1(VALU_DEP_4)
	v_sub_nc_u16 v8, v8, v1
	v_mad_co_u64_u32 v[17:18], null, s17, v17, v[10:11]
	v_mul_lo_u32 v1, s18, v4
	s_delay_alu instid0(VALU_DEP_4) | instskip(NEXT) | instid1(VALU_DEP_4)
	v_lshrrev_b32_e32 v7, 16, v7
	v_and_b32_e32 v26, 0xffff, v8
	v_mov_b32_e32 v10, v16
	s_delay_alu instid0(VALU_DEP_3) | instskip(NEXT) | instid1(VALU_DEP_2)
	v_mul_lo_u16 v14, 0x121, v7
	v_mad_co_u64_u32 v[20:21], null, s17, v20, v[10:11]
	v_lshlrev_b64_e32 v[11:12], 2, v[11:12]
	s_delay_alu instid0(VALU_DEP_3)
	v_sub_nc_u16 v9, v19, v14
	v_mad_co_u64_u32 v[18:19], null, s16, v26, 0
	v_lshrrev_b32_e32 v10, 16, v22
	v_lshlrev_b64_e32 v[21:22], 2, v[1:2]
	v_add_co_u32 v23, vcc_lo, s0, v11
	s_wait_alu 0xfffd
	v_add_co_ci_u32_e32 v24, vcc_lo, s1, v12, vcc_lo
	v_dual_mov_b32 v1, v19 :: v_dual_mov_b32 v14, v17
	v_and_b32_e32 v27, 0xffff, v9
	s_delay_alu instid0(VALU_DEP_2) | instskip(NEXT) | instid1(VALU_DEP_3)
	v_mad_co_u64_u32 v[11:12], null, s17, v26, v[1:2]
	v_lshlrev_b64_e32 v[13:14], 2, v[13:14]
	s_delay_alu instid0(VALU_DEP_2) | instskip(SKIP_1) | instid1(VALU_DEP_3)
	v_mov_b32_e32 v19, v11
	v_mul_lo_u16 v11, 0x121, v10
	v_add_co_u32 v12, vcc_lo, s0, v13
	s_wait_alu 0xfffd
	s_delay_alu instid0(VALU_DEP_4) | instskip(NEXT) | instid1(VALU_DEP_3)
	v_add_co_ci_u32_e32 v13, vcc_lo, s1, v14, vcc_lo
	v_sub_nc_u16 v11, v25, v11
	s_delay_alu instid0(VALU_DEP_1) | instskip(NEXT) | instid1(VALU_DEP_1)
	v_dual_mov_b32 v16, v20 :: v_dual_and_b32 v29, 0xffff, v11
	v_lshlrev_b64_e32 v[15:16], 2, v[15:16]
	s_delay_alu instid0(VALU_DEP_1) | instskip(SKIP_1) | instid1(VALU_DEP_2)
	v_add_co_u32 v1, vcc_lo, s0, v15
	s_wait_alu 0xfffd
	v_add_co_ci_u32_e32 v15, vcc_lo, s1, v16, vcc_lo
	v_lshlrev_b64_e32 v[16:17], 2, v[18:19]
	v_mad_co_u64_u32 v[18:19], null, s16, v27, 0
	v_add_co_u32 v14, vcc_lo, v1, v21
	v_mul_lo_u32 v1, s18, v6
	s_wait_alu 0xfffd
	v_add_co_ci_u32_e32 v15, vcc_lo, v15, v22, vcc_lo
	v_add_co_u32 v25, vcc_lo, s0, v16
	v_mov_b32_e32 v16, v19
	s_wait_alu 0xfffd
	v_add_co_ci_u32_e32 v26, vcc_lo, s1, v17, vcc_lo
	v_lshlrev_b64_e32 v[19:20], 2, v[1:2]
	v_and_b32_e32 v1, 0xffff, v28
	v_mad_co_u64_u32 v[16:17], null, s17, v27, v[16:17]
	v_mad_co_u64_u32 v[21:22], null, s16, v29, 0
	s_delay_alu instid0(VALU_DEP_4)
	v_add_co_u32 v25, vcc_lo, v25, v19
	v_add_nc_u16 v27, v0, 0x341
	v_mul_u32_u24_e32 v1, 0xe3, v1
	v_mov_b32_e32 v19, v16
	s_wait_alu 0xfffd
	v_add_co_ci_u32_e32 v26, vcc_lo, v26, v20, vcc_lo
	v_mov_b32_e32 v16, v22
	v_and_b32_e32 v30, 0xffff, v27
	v_lshlrev_b64_e32 v[17:18], 2, v[18:19]
	v_lshrrev_b32_e32 v33, 16, v1
	v_mul_lo_u32 v1, s18, v7
	s_delay_alu instid0(VALU_DEP_3) | instskip(SKIP_1) | instid1(VALU_DEP_4)
	v_mad_co_u64_u32 v[19:20], null, s17, v29, v[16:17]
	v_mul_u32_u24_e32 v20, 0xe3, v30
	v_mul_lo_u16 v22, 0x121, v33
	s_delay_alu instid0(VALU_DEP_2) | instskip(NEXT) | instid1(VALU_DEP_2)
	v_lshrrev_b32_e32 v35, 16, v20
	v_sub_nc_u16 v34, v28, v22
	v_add_co_u32 v28, vcc_lo, s0, v17
	v_lshlrev_b64_e32 v[16:17], 2, v[1:2]
	v_mul_lo_u32 v1, s18, v10
	v_mul_lo_u16 v20, 0x121, v35
	v_and_b32_e32 v30, 0xffff, v34
	v_mov_b32_e32 v22, v19
	s_wait_alu 0xfffd
	v_add_co_ci_u32_e32 v29, vcc_lo, s1, v18, vcc_lo
	v_sub_nc_u16 v36, v27, v20
	v_mad_co_u64_u32 v[18:19], null, s16, v30, 0
	v_add_co_u32 v16, vcc_lo, v28, v16
	v_lshlrev_b64_e32 v[27:28], 2, v[1:2]
	v_and_b32_e32 v1, 0xffff, v32
	v_lshlrev_b64_e32 v[20:21], 2, v[21:22]
	v_and_b32_e32 v22, 0xffff, v36
	s_wait_alu 0xfffd
	v_add_co_ci_u32_e32 v17, vcc_lo, v29, v17, vcc_lo
	v_mul_u32_u24_e32 v1, 0x717, v1
	s_delay_alu instid0(VALU_DEP_4) | instskip(SKIP_2) | instid1(VALU_DEP_4)
	v_mad_co_u64_u32 v[29:30], null, s17, v30, v[19:20]
	v_mad_co_u64_u32 v[30:31], null, s16, v22, 0
	v_add_co_u32 v20, vcc_lo, s0, v20
	v_lshrrev_b32_e32 v37, 19, v1
	s_wait_alu 0xfffd
	v_add_co_ci_u32_e32 v21, vcc_lo, s1, v21, vcc_lo
	v_mov_b32_e32 v19, v29
	v_mov_b32_e32 v1, v31
	v_add_co_u32 v20, vcc_lo, v20, v27
	v_mul_lo_u16 v29, 0x121, v37
	s_wait_alu 0xfffd
	v_add_co_ci_u32_e32 v21, vcc_lo, v21, v28, vcc_lo
	v_mad_co_u64_u32 v[27:28], null, s17, v22, v[1:2]
	s_delay_alu instid0(VALU_DEP_3) | instskip(SKIP_2) | instid1(VALU_DEP_3)
	v_sub_nc_u16 v39, v32, v29
	v_lshlrev_b64_e32 v[18:19], 2, v[18:19]
	v_mul_lo_u32 v1, s18, v33
	v_and_b32_e32 v41, 0xffff, v39
	v_mov_b32_e32 v31, v27
	s_delay_alu instid0(VALU_DEP_4)
	v_add_co_u32 v32, vcc_lo, s0, v18
	s_wait_alu 0xfffd
	v_add_co_ci_u32_e32 v40, vcc_lo, s1, v19, vcc_lo
	v_lshlrev_b64_e32 v[18:19], 2, v[1:2]
	v_mul_lo_u32 v1, s18, v35
	v_lshlrev_b64_e32 v[27:28], 2, v[30:31]
	v_mad_co_u64_u32 v[29:30], null, s16, v41, 0
	v_and_b32_e32 v22, 0xffff, v38
	v_add_co_u32 v18, vcc_lo, v32, v18
	s_wait_alu 0xfffd
	v_add_co_ci_u32_e32 v19, vcc_lo, v40, v19, vcc_lo
	v_lshlrev_b64_e32 v[31:32], 2, v[1:2]
	v_mov_b32_e32 v1, v30
	v_mul_u32_u24_e32 v22, 0x717, v22
	v_add_co_u32 v27, vcc_lo, s0, v27
	s_wait_alu 0xfffd
	v_add_co_ci_u32_e32 v28, vcc_lo, s1, v28, vcc_lo
	s_delay_alu instid0(VALU_DEP_3) | instskip(NEXT) | instid1(VALU_DEP_3)
	v_lshrrev_b32_e32 v42, 19, v22
	v_add_co_u32 v27, vcc_lo, v27, v31
	v_mad_co_u64_u32 v[30:31], null, s17, v41, v[1:2]
	s_delay_alu instid0(VALU_DEP_3) | instskip(SKIP_2) | instid1(VALU_DEP_2)
	v_mul_lo_u16 v22, 0x121, v42
	s_wait_alu 0xfffd
	v_add_co_ci_u32_e32 v28, vcc_lo, v28, v32, vcc_lo
	v_sub_nc_u16 v38, v38, v22
	v_add_nc_u16 v22, v0, 0x4a6
	s_delay_alu instid0(VALU_DEP_2) | instskip(NEXT) | instid1(VALU_DEP_2)
	v_and_b32_e32 v40, 0xffff, v38
	v_and_b32_e32 v43, 0xffff, v22
	s_delay_alu instid0(VALU_DEP_2) | instskip(NEXT) | instid1(VALU_DEP_2)
	v_mad_co_u64_u32 v[31:32], null, s16, v40, 0
	v_mul_u32_u24_e32 v1, 0x717, v43
	s_clause 0x7
	global_load_b32 v41, v[23:24], off
	global_load_b32 v43, v[12:13], off
	global_load_b32 v44, v[14:15], off
	global_load_b32 v45, v[25:26], off
	global_load_b32 v46, v[16:17], off
	global_load_b32 v47, v[20:21], off
	global_load_b32 v48, v[18:19], off
	global_load_b32 v49, v[27:28], off
	v_add_nc_u16 v17, v0, 0x51d
	v_lshlrev_b64_e32 v[13:14], 2, v[29:30]
	v_add_nc_u16 v23, v0, 0x594
	v_lshrrev_b32_e32 v50, 19, v1
	s_delay_alu instid0(VALU_DEP_4) | instskip(SKIP_2) | instid1(VALU_DEP_4)
	v_dual_mov_b32 v12, v32 :: v_dual_and_b32 v19, 0xffff, v17
	v_mul_lo_u32 v1, s18, v37
	v_add_nc_u16 v25, v0, 0x60b
	v_mul_lo_u16 v18, 0x121, v50
	s_delay_alu instid0(VALU_DEP_4) | instskip(SKIP_1) | instid1(VALU_DEP_3)
	v_mad_co_u64_u32 v[15:16], null, s17, v40, v[12:13]
	v_mul_u32_u24_e32 v16, 0x717, v19
	v_sub_nc_u16 v29, v22, v18
	v_add_co_u32 v18, vcc_lo, s0, v13
	s_delay_alu instid0(VALU_DEP_3) | instskip(SKIP_1) | instid1(VALU_DEP_4)
	v_lshrrev_b32_e32 v30, 19, v16
	v_mov_b32_e32 v32, v15
	v_and_b32_e32 v20, 0xffff, v29
	v_lshlrev_b64_e32 v[12:13], 2, v[1:2]
	v_mul_lo_u32 v1, s18, v42
	v_mul_lo_u16 v16, 0x121, v30
	s_wait_alu 0xfffd
	v_add_co_ci_u32_e32 v19, vcc_lo, s1, v14, vcc_lo
	v_mad_co_u64_u32 v[14:15], null, s16, v20, 0
	s_delay_alu instid0(VALU_DEP_3)
	v_sub_nc_u16 v40, v17, v16
	v_lshlrev_b64_e32 v[16:17], 2, v[31:32]
	v_add_co_u32 v12, vcc_lo, v18, v12
	s_wait_alu 0xfffd
	v_add_co_ci_u32_e32 v13, vcc_lo, v19, v13, vcc_lo
	v_and_b32_e32 v24, 0xffff, v40
	v_lshlrev_b64_e32 v[18:19], 2, v[1:2]
	v_and_b32_e32 v1, 0xffff, v23
	v_mad_co_u64_u32 v[20:21], null, s17, v20, v[15:16]
	s_delay_alu instid0(VALU_DEP_4) | instskip(NEXT) | instid1(VALU_DEP_3)
	v_mad_co_u64_u32 v[21:22], null, s16, v24, 0
	v_mul_u32_u24_e32 v1, 0x717, v1
	v_add_co_u32 v16, vcc_lo, s0, v16
	s_wait_alu 0xfffd
	v_add_co_ci_u32_e32 v17, vcc_lo, s1, v17, vcc_lo
	v_mov_b32_e32 v15, v20
	v_lshrrev_b32_e32 v31, 19, v1
	v_mov_b32_e32 v1, v22
	v_add_co_u32 v16, vcc_lo, v16, v18
	s_wait_alu 0xfffd
	v_add_co_ci_u32_e32 v17, vcc_lo, v17, v19, vcc_lo
	v_lshlrev_b64_e32 v[14:15], 2, v[14:15]
	v_mad_co_u64_u32 v[18:19], null, s17, v24, v[1:2]
	v_mul_lo_u32 v1, s18, v50
	v_mul_lo_u16 v20, 0x121, v31
	v_and_b32_e32 v19, 0xffff, v25
	s_delay_alu instid0(VALU_DEP_2) | instskip(SKIP_1) | instid1(VALU_DEP_3)
	v_sub_nc_u16 v32, v23, v20
	v_add_co_u32 v23, vcc_lo, s0, v14
	v_mul_u32_u24_e32 v27, 0x717, v19
	s_wait_alu 0xfffd
	v_add_co_ci_u32_e32 v24, vcc_lo, s1, v15, vcc_lo
	v_lshlrev_b64_e32 v[14:15], 2, v[1:2]
	v_mov_b32_e32 v22, v18
	v_lshrrev_b32_e32 v51, 19, v27
	v_and_b32_e32 v26, 0xffff, v32
	v_mul_lo_u32 v1, s18, v30
	v_add_co_u32 v14, vcc_lo, v23, v14
	s_wait_alu 0xfffd
	v_add_co_ci_u32_e32 v15, vcc_lo, v24, v15, vcc_lo
	v_mul_lo_u16 v24, 0x121, v51
	v_lshlrev_b64_e32 v[18:19], 2, v[21:22]
	v_mad_co_u64_u32 v[20:21], null, s16, v26, 0
	v_lshlrev_b64_e32 v[22:23], 2, v[1:2]
	s_delay_alu instid0(VALU_DEP_4)
	v_sub_nc_u16 v52, v25, v24
	v_add_nc_u16 v24, v0, 0x682
	v_add_co_u32 v18, vcc_lo, s0, v18
	s_wait_alu 0xfffd
	v_add_co_ci_u32_e32 v19, vcc_lo, s1, v19, vcc_lo
	v_mov_b32_e32 v1, v21
	v_and_b32_e32 v27, 0xffff, v24
	v_and_b32_e32 v25, 0xffff, v52
	v_add_co_u32 v18, vcc_lo, v18, v22
	s_delay_alu instid0(VALU_DEP_4) | instskip(NEXT) | instid1(VALU_DEP_4)
	v_mad_co_u64_u32 v[21:22], null, s17, v26, v[1:2]
	v_mul_u32_u24_e32 v26, 0x717, v27
	v_add_nc_u16 v27, v0, 0x6f9
	s_wait_alu 0xfffd
	v_add_co_ci_u32_e32 v19, vcc_lo, v19, v23, vcc_lo
	v_mad_co_u64_u32 v[22:23], null, s16, v25, 0
	s_clause 0x3
	global_load_b32 v53, v[12:13], off
	global_load_b32 v54, v[16:17], off
	;; [unrolled: 1-line block ×4, first 2 shown]
	v_and_b32_e32 v15, 0xffff, v27
	v_add_nc_u16 v16, v0, 0x770
	v_lshrrev_b32_e32 v57, 19, v26
	v_mul_lo_u32 v1, s18, v31
	v_lshlrev_b64_e32 v[12:13], 2, v[20:21]
	v_mov_b32_e32 v14, v23
	v_mul_u32_u24_e32 v18, 0x717, v15
	v_and_b32_e32 v19, 0xffff, v16
	v_mul_lo_u16 v17, 0x121, v57
	s_delay_alu instid0(VALU_DEP_4) | instskip(NEXT) | instid1(VALU_DEP_4)
	v_mad_co_u64_u32 v[14:15], null, s17, v25, v[14:15]
	v_lshrrev_b32_e32 v59, 19, v18
	s_delay_alu instid0(VALU_DEP_4) | instskip(NEXT) | instid1(VALU_DEP_4)
	v_mul_u32_u24_e32 v15, 0x717, v19
	v_sub_nc_u16 v58, v24, v17
	v_add_co_u32 v17, vcc_lo, s0, v12
	s_wait_alu 0xfffd
	v_add_co_ci_u32_e32 v18, vcc_lo, s1, v13, vcc_lo
	v_lshlrev_b64_e32 v[12:13], 2, v[1:2]
	v_mul_lo_u16 v1, 0x121, v59
	v_lshrrev_b32_e32 v60, 19, v15
	v_dual_mov_b32 v23, v14 :: v_dual_and_b32 v20, 0xffff, v58
	s_delay_alu instid0(VALU_DEP_3) | instskip(NEXT) | instid1(VALU_DEP_3)
	v_sub_nc_u16 v61, v27, v1
	v_mul_lo_u16 v1, 0x121, v60
	s_delay_alu instid0(VALU_DEP_3) | instskip(SKIP_1) | instid1(VALU_DEP_4)
	v_mad_co_u64_u32 v[14:15], null, s16, v20, 0
	v_add_co_u32 v12, vcc_lo, v17, v12
	v_and_b32_e32 v25, 0xffff, v61
	s_delay_alu instid0(VALU_DEP_4)
	v_sub_nc_u16 v62, v16, v1
	v_lshlrev_b64_e32 v[16:17], 2, v[22:23]
	s_wait_alu 0xfffd
	v_add_co_ci_u32_e32 v13, vcc_lo, v18, v13, vcc_lo
	v_mad_co_u64_u32 v[18:19], null, s16, v25, 0
	v_and_b32_e32 v27, 0xffff, v62
	v_mul_lo_u32 v1, s18, v51
	v_mad_co_u64_u32 v[20:21], null, s17, v20, v[15:16]
	v_add_co_u32 v26, vcc_lo, s0, v16
	s_delay_alu instid0(VALU_DEP_4)
	v_mad_co_u64_u32 v[21:22], null, s16, v27, 0
	v_mov_b32_e32 v16, v19
	v_lshlrev_b64_e32 v[23:24], 2, v[1:2]
	s_wait_alu 0xfffd
	v_add_co_ci_u32_e32 v28, vcc_lo, s1, v17, vcc_lo
	v_mul_lo_u32 v1, s18, v57
	v_mad_co_u64_u32 v[16:17], null, s17, v25, v[16:17]
	v_mov_b32_e32 v17, v22
	v_mov_b32_e32 v15, v20
	v_add_co_u32 v23, vcc_lo, v26, v23
	s_wait_alu 0xfffd
	v_add_co_ci_u32_e32 v24, vcc_lo, v28, v24, vcc_lo
	v_mad_co_u64_u32 v[27:28], null, s17, v27, v[17:18]
	v_lshlrev_b64_e32 v[14:15], 2, v[14:15]
	v_lshlrev_b64_e32 v[25:26], 2, v[1:2]
	v_mul_lo_u32 v1, s18, v59
	v_mov_b32_e32 v19, v16
	s_delay_alu instid0(VALU_DEP_4)
	v_add_co_u32 v16, vcc_lo, s0, v14
	v_mov_b32_e32 v22, v27
	s_wait_alu 0xfffd
	v_add_co_ci_u32_e32 v17, vcc_lo, s1, v15, vcc_lo
	v_lshlrev_b64_e32 v[14:15], 2, v[18:19]
	v_lshlrev_b64_e32 v[18:19], 2, v[1:2]
	v_mul_lo_u32 v1, s18, v60
	v_add_co_u32 v16, vcc_lo, v16, v25
	v_lshlrev_b64_e32 v[20:21], 2, v[21:22]
	s_wait_alu 0xfffd
	v_add_co_ci_u32_e32 v17, vcc_lo, v17, v26, vcc_lo
	v_add_co_u32 v14, vcc_lo, s0, v14
	s_wait_alu 0xfffd
	v_add_co_ci_u32_e32 v15, vcc_lo, s1, v15, vcc_lo
	v_add_co_u32 v20, vcc_lo, s0, v20
	v_lshlrev_b64_e32 v[1:2], 2, v[1:2]
	s_wait_alu 0xfffd
	v_add_co_ci_u32_e32 v21, vcc_lo, s1, v21, vcc_lo
	v_add_co_u32 v14, vcc_lo, v14, v18
	s_wait_alu 0xfffd
	v_add_co_ci_u32_e32 v15, vcc_lo, v15, v19, vcc_lo
	v_add_co_u32 v1, vcc_lo, v20, v1
	s_wait_alu 0xfffd
	v_add_co_ci_u32_e32 v2, vcc_lo, v21, v2, vcc_lo
	s_clause 0x4
	global_load_b32 v12, v[12:13], off
	global_load_b32 v13, v[23:24], off
	;; [unrolled: 1-line block ×5, first 2 shown]
	v_mul_lo_u16 v2, v0, 7
	v_mad_u16 v15, v0, 7, 0x341
	s_delay_alu instid0(VALU_DEP_2) | instskip(NEXT) | instid1(VALU_DEP_2)
	v_and_b32_e32 v2, 0xffff, v2
	v_and_b32_e32 v15, 0xffff, v15
	s_delay_alu instid0(VALU_DEP_2) | instskip(NEXT) | instid1(VALU_DEP_2)
	v_lshl_add_u32 v2, v2, 2, 0
	v_lshl_add_u32 v15, v15, 2, 0
	s_wait_loadcnt 0x10
	ds_store_b32 v2, v41
	s_wait_loadcnt 0xf
	ds_store_b32 v15, v43
	v_mad_u16 v2, v5, 7, v4
	v_mad_u16 v4, v8, 7, v6
	v_mad_u16 v5, v9, 7, v7
	v_mad_u16 v6, v11, 7, v10
	v_mad_u16 v7, v34, 7, v33
	v_and_b32_e32 v2, 0xffff, v2
	v_and_b32_e32 v4, 0xffff, v4
	v_and_b32_e32 v5, 0xffff, v5
	v_and_b32_e32 v6, 0xffff, v6
	v_and_b32_e32 v7, 0xffff, v7
	v_lshl_add_u32 v2, v2, 2, 0
	v_lshl_add_u32 v4, v4, 2, 0
	v_lshl_add_u32 v5, v5, 2, 0
	v_lshl_add_u32 v6, v6, 2, 0
	v_lshl_add_u32 v7, v7, 2, 0
	s_wait_loadcnt 0xe
	ds_store_b32 v2, v44
	s_wait_loadcnt 0xd
	ds_store_b32 v4, v45
	s_wait_loadcnt 0xc
	ds_store_b32 v5, v46
	s_wait_loadcnt 0xb
	ds_store_b32 v6, v47
	s_wait_loadcnt 0xa
	ds_store_b32 v7, v48
	v_mad_u16 v2, v36, 7, v35
	v_mad_u16 v4, v39, 7, v37
	v_mad_u16 v5, v38, 7, v42
	v_mad_u16 v6, v29, 7, v50
	v_mad_u16 v7, v40, 7, v30
	v_and_b32_e32 v2, 0xffff, v2
	v_and_b32_e32 v4, 0xffff, v4
	v_and_b32_e32 v5, 0xffff, v5
	v_and_b32_e32 v6, 0xffff, v6
	v_and_b32_e32 v7, 0xffff, v7
	v_lshl_add_u32 v2, v2, 2, 0
	v_lshl_add_u32 v4, v4, 2, 0
	v_lshl_add_u32 v5, v5, 2, 0
	v_lshl_add_u32 v6, v6, 2, 0
	v_lshl_add_u32 v7, v7, 2, 0
	s_wait_loadcnt 0x9
	ds_store_b32 v2, v49
	s_wait_loadcnt 0x8
	ds_store_b32 v4, v53
	s_wait_loadcnt 0x7
	ds_store_b32 v5, v54
	;; [unrolled: 25-line block ×3, first 2 shown]
	s_wait_loadcnt 0x1
	ds_store_b32 v6, v14
	s_wait_loadcnt 0x0
	ds_store_b32 v7, v1
.LBB0_16:
	v_mul_u32_u24_e32 v1, 0x2493, v3
	v_mul_hi_u32 v20, 0x24924925, v0
	global_wb scope:SCOPE_SE
	s_wait_dscnt 0x0
	s_barrier_signal -1
	s_barrier_wait -1
	v_lshrrev_b32_e32 v1, 16, v1
	global_inv scope:SCOPE_SE
	v_mul_lo_u16 v1, v1, 7
	s_delay_alu instid0(VALU_DEP_1) | instskip(NEXT) | instid1(VALU_DEP_1)
	v_sub_nc_u16 v1, v0, v1
	v_and_b32_e32 v11, 0xffff, v1
	v_mul_u32_u24_e32 v1, 28, v20
	s_delay_alu instid0(VALU_DEP_2) | instskip(NEXT) | instid1(VALU_DEP_1)
	v_lshlrev_b32_e32 v21, 2, v11
	v_add3_u32 v12, 0, v1, v21
	ds_load_2addr_b32 v[31:32], v12 offset1:119
	v_add_nc_u32_e32 v13, 0x200, v12
	v_add_nc_u32_e32 v15, 0x600, v12
	;; [unrolled: 1-line block ×5, first 2 shown]
	ds_load_2addr_b32 v[33:34], v13 offset0:110 offset1:229
	ds_load_2addr_b32 v[7:8], v15 offset0:92 offset1:211
	;; [unrolled: 1-line block ×4, first 2 shown]
	v_add_nc_u32_e32 v19, 0x1600, v12
	v_add_nc_u32_e32 v14, 0x1800, v12
	ds_load_b32 v24, v12 offset:7616
	ds_load_2addr_b32 v[5:6], v18 offset0:38 offset1:157
	ds_load_2addr_b32 v[9:10], v19 offset0:20 offset1:139
	;; [unrolled: 1-line block ×3, first 2 shown]
	global_wb scope:SCOPE_SE
	s_wait_dscnt 0x0
	s_barrier_signal -1
	s_barrier_wait -1
	global_inv scope:SCOPE_SE
	v_lshrrev_b32_e32 v37, 16, v32
	v_lshrrev_b32_e32 v39, 16, v31
	v_add_f16_e32 v40, v32, v31
	v_lshrrev_b32_e32 v42, 16, v33
	s_delay_alu instid0(VALU_DEP_3) | instskip(SKIP_1) | instid1(VALU_DEP_4)
	v_add_f16_e32 v48, v37, v39
	v_lshrrev_b32_e32 v43, 16, v34
	v_add_f16_e32 v40, v40, v33
	v_lshrrev_b32_e32 v44, 16, v7
	v_lshrrev_b32_e32 v29, 16, v8
	v_add_f16_e32 v48, v48, v42
	v_lshrrev_b32_e32 v27, 16, v3
	v_add_f16_e32 v40, v40, v34
	v_lshrrev_b32_e32 v25, 16, v4
	v_lshrrev_b32_e32 v22, 16, v1
	;; [unrolled: 5-line block ×4, first 2 shown]
	v_add_f16_e32 v48, v48, v29
	v_lshrrev_b32_e32 v46, 16, v35
	v_add_f16_e32 v40, v40, v3
	v_lshrrev_b32_e32 v47, 16, v36
	v_add_f16_e32 v49, v38, v37
	v_add_f16_e32 v48, v48, v27
	v_sub_f16_e32 v37, v37, v38
	v_add_f16_e32 v40, v40, v4
	v_add_f16_e32 v41, v24, v32
	v_sub_f16_e32 v32, v32, v24
	v_add_f16_e32 v48, v48, v25
	v_mul_f16_e32 v61, 0xbb29, v37
	v_add_f16_e32 v40, v40, v1
	v_mul_f16_e32 v63, 0xbbf7, v37
	v_mul_f16_e32 v65, 0xbbb2, v37
	v_add_f16_e32 v48, v48, v22
	v_mul_f16_e32 v67, 0xba62, v37
	v_add_f16_e32 v40, v40, v2
	v_mul_f16_e32 v69, 0xb836, v37
	v_mul_f16_e32 v57, 0xb5c8, v37
	v_add_f16_e32 v48, v48, v23
	v_mul_f16_e32 v59, 0xb964, v37
	v_add_f16_e32 v40, v40, v5
	v_fma_f16 v72, v41, 0x3722, -v61
	v_fmac_f16_e32 v61, 0x3722, v41
	v_add_f16_e32 v48, v48, v26
	v_fma_f16 v73, v41, 0x2de8, -v63
	v_add_f16_e32 v40, v40, v6
	v_fma_f16 v74, v41, 0xb461, -v65
	v_fma_f16 v75, v41, 0xb8d2, -v67
	v_add_f16_e32 v48, v48, v28
	v_fma_f16 v76, v41, 0xbacd, -v69
	v_add_f16_e32 v40, v40, v9
	v_mul_f16_e32 v37, 0xb1e1, v37
	v_mul_f16_e32 v50, 0xb5c8, v32
	v_add_f16_e32 v48, v48, v30
	v_mul_f16_e32 v51, 0xb964, v32
	v_add_f16_e32 v40, v40, v10
	v_mul_f16_e32 v52, 0xbb29, v32
	v_mul_f16_e32 v53, 0xbbf7, v32
	v_add_f16_e32 v48, v48, v45
	v_mul_f16_e32 v54, 0xbbb2, v32
	v_add_f16_e32 v40, v40, v35
	v_mul_f16_e32 v55, 0xba62, v32
	v_mul_f16_e32 v56, 0xb836, v32
	v_add_f16_e32 v48, v48, v46
	v_fma_f16 v70, v41, 0x3b76, -v57
	v_add_f16_e32 v40, v40, v36
	v_fmac_f16_e32 v57, 0x3b76, v41
	v_fma_f16 v71, v41, 0x39e9, -v59
	v_add_f16_e32 v48, v48, v47
	v_fmac_f16_e32 v59, 0x39e9, v41
	v_add_f16_e32 v24, v40, v24
	v_fmac_f16_e32 v63, 0x2de8, v41
	v_fmac_f16_e32 v65, 0xb461, v41
	v_add_f16_e32 v38, v48, v38
	v_fmac_f16_e32 v67, 0xb8d2, v41
	v_add_f16_e32 v40, v72, v31
	v_add_f16_e32 v48, v61, v31
	;; [unrolled: 1-line block ×3, first 2 shown]
	v_and_b32_e32 v24, 0xffff, v24
	v_lshlrev_b32_e32 v38, 16, v38
	v_add_f16_e32 v72, v74, v31
	v_add_f16_e32 v73, v75, v31
	;; [unrolled: 1-line block ×3, first 2 shown]
	v_fmac_f16_e32 v69, 0xbacd, v41
	v_fma_f16 v75, v41, 0xbbdd, -v37
	v_mul_f16_e32 v32, 0xb1e1, v32
	v_sub_f16_e32 v76, v42, v47
	v_fmac_f16_e32 v37, 0xbbdd, v41
	v_sub_f16_e32 v41, v33, v36
	v_fmamk_f16 v58, v49, 0x3b76, v50
	v_fma_f16 v50, v49, 0x3b76, -v50
	v_fmamk_f16 v60, v49, 0x39e9, v51
	v_fma_f16 v51, v49, 0x39e9, -v51
	v_fmamk_f16 v62, v49, 0x3722, v52
	v_fma_f16 v52, v49, 0x3722, -v52
	v_fmamk_f16 v64, v49, 0x2de8, v53
	v_fma_f16 v53, v49, 0x2de8, -v53
	v_fmamk_f16 v66, v49, 0xb461, v54
	v_fma_f16 v54, v49, 0xb461, -v54
	v_fmamk_f16 v68, v49, 0xb8d2, v55
	v_fma_f16 v55, v49, 0xb8d2, -v55
	v_or_b32_e32 v24, v38, v24
	v_add_f16_e32 v38, v67, v31
	v_fmamk_f16 v67, v49, 0xbacd, v56
	v_fma_f16 v56, v49, 0xbacd, -v56
	v_fmamk_f16 v77, v49, 0xbbdd, v32
	v_add_f16_e32 v33, v36, v33
	v_mul_f16_e32 v36, 0xb964, v76
	v_fma_f16 v32, v49, 0xbbdd, -v32
	v_add_f16_e32 v42, v47, v42
	v_mul_f16_e32 v47, 0xb964, v41
	v_add_f16_e32 v58, v58, v39
	v_add_f16_e32 v50, v50, v39
	;; [unrolled: 1-line block ×23, first 2 shown]
	v_fma_f16 v77, v33, 0x39e9, -v36
	v_add_f16_e32 v31, v37, v31
	v_add_f16_e32 v32, v32, v39
	v_fmamk_f16 v37, v42, 0x39e9, v47
	v_mul_f16_e32 v39, 0xbbf7, v76
	v_add_f16_e32 v70, v77, v70
	v_fmac_f16_e32 v36, 0x39e9, v33
	v_fma_f16 v47, v42, 0x39e9, -v47
	v_add_f16_e32 v37, v37, v58
	v_fma_f16 v58, v33, 0x2de8, -v39
	v_mul_f16_e32 v77, 0xbbf7, v41
	v_add_f16_e32 v36, v36, v57
	v_add_f16_e32 v47, v47, v50
	v_mul_f16_e32 v50, 0xba62, v76
	v_add_f16_e32 v57, v58, v71
	v_fmamk_f16 v58, v42, 0x2de8, v77
	v_fmac_f16_e32 v39, 0x2de8, v33
	v_mul_f16_e32 v78, 0xba62, v41
	v_fma_f16 v71, v42, 0x2de8, -v77
	v_fma_f16 v77, v33, 0xb8d2, -v50
	v_add_f16_e32 v58, v58, v60
	v_add_f16_e32 v39, v39, v59
	v_fmamk_f16 v59, v42, 0xb8d2, v78
	v_mul_f16_e32 v60, 0xb1e1, v76
	v_add_f16_e32 v51, v71, v51
	v_add_f16_e32 v40, v77, v40
	v_fmac_f16_e32 v50, 0xb8d2, v33
	v_fma_f16 v71, v42, 0xb8d2, -v78
	v_mul_f16_e32 v77, 0xb1e1, v41
	v_add_f16_e32 v59, v59, v62
	v_fma_f16 v62, v33, 0xbbdd, -v60
	v_add_f16_e32 v48, v50, v48
	v_add_f16_e32 v50, v71, v52
	v_fmamk_f16 v52, v42, 0xbbdd, v77
	v_mul_f16_e32 v71, 0x3836, v76
	v_add_f16_e32 v61, v62, v61
	v_fma_f16 v62, v42, 0xbbdd, -v77
	v_fmac_f16_e32 v60, 0xbbdd, v33
	v_add_f16_e32 v52, v52, v64
	v_fma_f16 v64, v33, 0xbacd, -v71
	v_mul_f16_e32 v77, 0x3836, v41
	v_add_f16_e32 v53, v62, v53
	v_mul_f16_e32 v62, 0x3bb2, v76
	v_add_f16_e32 v60, v60, v63
	v_add_f16_e32 v63, v64, v72
	v_fmamk_f16 v64, v42, 0xbacd, v77
	v_fmac_f16_e32 v71, 0xbacd, v33
	v_fma_f16 v72, v42, 0xbacd, -v77
	v_fma_f16 v77, v33, 0xb461, -v62
	v_mul_f16_e32 v78, 0x3bb2, v41
	v_add_f16_e32 v64, v64, v66
	v_add_f16_e32 v65, v71, v65
	;; [unrolled: 1-line block ×4, first 2 shown]
	v_fmamk_f16 v71, v42, 0xb461, v78
	v_mul_f16_e32 v72, 0x3b29, v76
	v_fmac_f16_e32 v62, 0xb461, v33
	v_mul_f16_e32 v73, 0x3b29, v41
	v_mul_f16_e32 v76, 0x35c8, v76
	v_add_f16_e32 v68, v71, v68
	v_fma_f16 v71, v33, 0x3722, -v72
	v_add_f16_e32 v38, v62, v38
	v_fmamk_f16 v62, v42, 0x3722, v73
	v_fmac_f16_e32 v72, 0x3722, v33
	v_mul_f16_e32 v41, 0x35c8, v41
	v_add_f16_e32 v71, v71, v74
	v_add_f16_e32 v74, v35, v34
	;; [unrolled: 1-line block ×3, first 2 shown]
	v_fma_f16 v67, v42, 0x3722, -v73
	v_fma_f16 v73, v33, 0x3b76, -v76
	v_add_f16_e32 v69, v72, v69
	v_sub_f16_e32 v72, v43, v46
	v_sub_f16_e32 v34, v34, v35
	v_add_f16_e32 v56, v67, v56
	v_add_f16_e32 v67, v73, v75
	v_fma_f16 v77, v42, 0xb461, -v78
	v_mul_f16_e32 v75, 0xbb29, v72
	v_fmamk_f16 v73, v42, 0x3b76, v41
	v_fmac_f16_e32 v76, 0x3b76, v33
	v_fma_f16 v33, v42, 0x3b76, -v41
	v_add_f16_e32 v35, v46, v43
	v_fma_f16 v41, v74, 0x3722, -v75
	v_mul_f16_e32 v42, 0xbb29, v34
	v_add_f16_e32 v43, v73, v49
	v_add_f16_e32 v32, v33, v32
	v_mul_f16_e32 v46, 0xba62, v72
	v_add_f16_e32 v33, v41, v70
	v_fmamk_f16 v41, v35, 0x3722, v42
	v_fma_f16 v42, v35, 0x3722, -v42
	v_mul_f16_e32 v49, 0xba62, v34
	v_mul_f16_e32 v70, 0x31e1, v72
	;; [unrolled: 1-line block ×3, first 2 shown]
	v_add_f16_e32 v37, v41, v37
	v_fma_f16 v41, v74, 0xb8d2, -v46
	v_add_f16_e32 v42, v42, v47
	v_fmamk_f16 v47, v35, 0xb8d2, v49
	v_fmac_f16_e32 v46, 0xb8d2, v74
	v_fma_f16 v49, v35, 0xb8d2, -v49
	v_add_f16_e32 v41, v41, v57
	v_fma_f16 v57, v74, 0xbbdd, -v70
	v_add_f16_e32 v47, v47, v58
	v_mul_f16_e32 v58, 0x31e1, v34
	v_add_f16_e32 v39, v46, v39
	v_add_f16_e32 v46, v49, v51
	v_mul_f16_e32 v49, 0x3bb2, v72
	v_add_f16_e32 v40, v57, v40
	v_fmamk_f16 v51, v35, 0xbbdd, v58
	v_fmac_f16_e32 v70, 0xbbdd, v74
	v_fma_f16 v57, v35, 0xbbdd, -v58
	v_fma_f16 v58, v74, 0xb461, -v49
	v_fmac_f16_e32 v49, 0xb461, v74
	v_add_f16_e32 v51, v51, v59
	v_add_f16_e32 v48, v70, v48
	;; [unrolled: 1-line block ×4, first 2 shown]
	v_fmamk_f16 v58, v35, 0xb461, v73
	v_mul_f16_e32 v59, 0x3964, v72
	v_fma_f16 v61, v35, 0xb461, -v73
	v_mul_f16_e32 v70, 0x3964, v34
	v_add_f16_e32 v49, v49, v60
	v_add_f16_e32 v52, v58, v52
	v_fma_f16 v58, v74, 0x39e9, -v59
	v_add_f16_e32 v53, v61, v53
	v_fmamk_f16 v60, v35, 0x39e9, v70
	v_mul_f16_e32 v61, 0xb5c8, v72
	v_fmac_f16_e32 v59, 0x39e9, v74
	v_add_f16_e32 v58, v58, v63
	v_fma_f16 v63, v35, 0x39e9, -v70
	v_add_f16_e32 v60, v60, v64
	v_fma_f16 v64, v74, 0x3b76, -v61
	v_mul_f16_e32 v70, 0xb5c8, v34
	v_add_f16_e32 v55, v77, v55
	v_add_f16_e32 v59, v59, v65
	v_mul_f16_e32 v73, 0xbbf7, v34
	v_add_f16_e32 v64, v64, v66
	v_fmamk_f16 v65, v35, 0x3b76, v70
	v_fma_f16 v66, v35, 0x3b76, -v70
	v_add_f16_e32 v54, v63, v54
	v_mul_f16_e32 v63, 0xbbf7, v72
	v_fmac_f16_e32 v61, 0x3b76, v74
	v_add_f16_e32 v65, v65, v68
	v_add_f16_e32 v55, v66, v55
	v_fmamk_f16 v66, v35, 0x2de8, v73
	v_mul_f16_e32 v68, 0xb836, v72
	v_fma_f16 v70, v74, 0x2de8, -v63
	v_fmac_f16_e32 v63, 0x2de8, v74
	v_mul_f16_e32 v34, 0xb836, v34
	v_add_f16_e32 v62, v66, v62
	v_fma_f16 v66, v74, 0xbacd, -v68
	v_add_f16_e32 v31, v76, v31
	v_add_f16_e32 v63, v63, v69
	v_sub_f16_e32 v69, v44, v45
	v_add_f16_e32 v38, v61, v38
	v_add_f16_e32 v66, v66, v67
	;; [unrolled: 1-line block ×3, first 2 shown]
	v_sub_f16_e32 v7, v7, v10
	v_add_f16_e32 v61, v70, v71
	v_fma_f16 v70, v35, 0x2de8, -v73
	v_fmamk_f16 v71, v35, 0xbacd, v34
	v_mul_f16_e32 v10, 0xbbf7, v69
	v_fmac_f16_e32 v68, 0xbacd, v74
	v_fma_f16 v34, v35, 0xbacd, -v34
	v_add_f16_e32 v35, v45, v44
	v_mul_f16_e32 v44, 0xbbf7, v7
	v_fmac_f16_e32 v75, 0x3722, v74
	v_fma_f16 v45, v67, 0x2de8, -v10
	v_add_f16_e32 v31, v68, v31
	v_add_f16_e32 v32, v34, v32
	v_mul_f16_e32 v34, 0xb1e1, v69
	v_fmamk_f16 v68, v35, 0x2de8, v44
	v_add_f16_e32 v36, v75, v36
	v_add_f16_e32 v33, v45, v33
	v_fmac_f16_e32 v10, 0x2de8, v67
	v_fma_f16 v44, v35, 0x2de8, -v44
	v_fma_f16 v45, v67, 0xbbdd, -v34
	v_add_f16_e32 v37, v68, v37
	v_mul_f16_e32 v68, 0xb1e1, v7
	v_add_f16_e32 v10, v10, v36
	v_add_f16_e32 v36, v44, v42
	;; [unrolled: 1-line block ×3, first 2 shown]
	v_fmac_f16_e32 v34, 0xbbdd, v67
	v_fmamk_f16 v44, v35, 0xbbdd, v68
	v_fma_f16 v45, v35, 0xbbdd, -v68
	v_mul_f16_e32 v68, 0x3bb2, v7
	v_mul_f16_e32 v42, 0x3bb2, v69
	v_add_f16_e32 v34, v34, v39
	v_add_f16_e32 v56, v70, v56
	;; [unrolled: 1-line block ×3, first 2 shown]
	v_fmamk_f16 v45, v35, 0xb461, v68
	v_fma_f16 v70, v67, 0xb461, -v42
	v_add_f16_e32 v44, v44, v47
	v_mul_f16_e32 v46, 0x35c8, v69
	v_fmac_f16_e32 v42, 0xb461, v67
	v_fma_f16 v47, v35, 0xb461, -v68
	v_add_f16_e32 v45, v45, v51
	v_mul_f16_e32 v51, 0x35c8, v7
	v_fma_f16 v68, v67, 0x3b76, -v46
	v_add_f16_e32 v42, v42, v48
	v_add_f16_e32 v47, v47, v50
	v_mul_f16_e32 v48, 0xbb29, v69
	v_fmamk_f16 v50, v35, 0x3b76, v51
	v_fmac_f16_e32 v46, 0x3b76, v67
	v_fma_f16 v51, v35, 0x3b76, -v51
	v_add_f16_e32 v57, v68, v57
	v_fma_f16 v68, v67, 0x3722, -v48
	v_add_f16_e32 v50, v50, v52
	v_mul_f16_e32 v52, 0xbb29, v7
	v_add_f16_e32 v46, v46, v49
	v_add_f16_e32 v49, v51, v53
	v_mul_f16_e32 v53, 0xb836, v69
	v_add_f16_e32 v40, v70, v40
	v_add_f16_e32 v51, v68, v58
	v_fmamk_f16 v58, v35, 0x3722, v52
	v_fmac_f16_e32 v48, 0x3722, v67
	v_fma_f16 v52, v35, 0x3722, -v52
	v_mul_f16_e32 v68, 0xb836, v7
	v_fma_f16 v70, v67, 0xbacd, -v53
	v_add_f16_e32 v58, v58, v60
	v_add_f16_e32 v48, v48, v59
	;; [unrolled: 1-line block ×3, first 2 shown]
	v_fmamk_f16 v54, v35, 0xbacd, v68
	v_add_f16_e32 v59, v70, v64
	v_mul_f16_e32 v60, 0x3a62, v69
	v_fmac_f16_e32 v53, 0xbacd, v67
	v_fma_f16 v64, v35, 0xbacd, -v68
	v_add_f16_e32 v54, v54, v65
	v_mul_f16_e32 v65, 0x3a62, v7
	v_fma_f16 v68, v67, 0xb8d2, -v60
	v_add_f16_e32 v38, v53, v38
	v_add_f16_e32 v53, v64, v55
	v_mul_f16_e32 v55, 0x3964, v69
	v_fmamk_f16 v64, v35, 0xb8d2, v65
	v_add_f16_e32 v61, v68, v61
	v_fmac_f16_e32 v60, 0xb8d2, v67
	v_fma_f16 v65, v35, 0xb8d2, -v65
	v_fma_f16 v68, v67, 0x39e9, -v55
	v_add_f16_e32 v62, v64, v62
	v_mul_f16_e32 v7, 0x3964, v7
	v_add_f16_e32 v60, v60, v63
	v_sub_f16_e32 v64, v29, v30
	v_add_f16_e32 v63, v68, v66
	v_sub_f16_e32 v66, v8, v9
	v_add_f16_e32 v43, v71, v43
	v_add_f16_e32 v56, v65, v56
	v_fmamk_f16 v65, v35, 0x39e9, v7
	v_fmac_f16_e32 v55, 0x39e9, v67
	v_add_f16_e32 v8, v9, v8
	v_mul_f16_e32 v9, 0xbbb2, v64
	v_fma_f16 v7, v35, 0x39e9, -v7
	v_add_f16_e32 v29, v30, v29
	v_mul_f16_e32 v30, 0xbbb2, v66
	v_add_f16_e32 v35, v65, v43
	v_fma_f16 v43, v8, 0xb461, -v9
	v_add_f16_e32 v31, v55, v31
	v_add_f16_e32 v7, v7, v32
	v_fmamk_f16 v32, v29, 0xb461, v30
	v_mul_f16_e32 v55, 0x3836, v64
	v_fmac_f16_e32 v9, 0xb461, v8
	v_fma_f16 v30, v29, 0xb461, -v30
	v_add_f16_e32 v33, v43, v33
	v_add_f16_e32 v32, v32, v37
	v_fma_f16 v37, v8, 0xbacd, -v55
	v_mul_f16_e32 v43, 0x3836, v66
	v_add_f16_e32 v9, v9, v10
	v_add_f16_e32 v10, v30, v36
	v_mul_f16_e32 v30, 0x3964, v64
	v_add_f16_e32 v36, v37, v41
	v_fmamk_f16 v37, v29, 0xbacd, v43
	v_fmac_f16_e32 v55, 0xbacd, v8
	v_fma_f16 v41, v29, 0xbacd, -v43
	v_fma_f16 v43, v8, 0x39e9, -v30
	v_mul_f16_e32 v65, 0x3964, v66
	v_add_f16_e32 v37, v37, v44
	v_add_f16_e32 v34, v55, v34
	;; [unrolled: 1-line block ×4, first 2 shown]
	v_fmamk_f16 v41, v29, 0x39e9, v65
	v_mul_f16_e32 v43, 0xbb29, v64
	v_fmac_f16_e32 v30, 0x39e9, v8
	v_fma_f16 v44, v29, 0x39e9, -v65
	v_mul_f16_e32 v55, 0xbb29, v66
	v_add_f16_e32 v41, v41, v45
	v_fma_f16 v45, v8, 0x3722, -v43
	v_add_f16_e32 v30, v30, v42
	v_add_f16_e32 v42, v44, v47
	v_fmamk_f16 v44, v29, 0x3722, v55
	v_mul_f16_e32 v47, 0xb1e1, v64
	v_fmac_f16_e32 v43, 0x3722, v8
	v_fma_f16 v55, v29, 0x3722, -v55
	v_add_f16_e32 v45, v45, v57
	v_add_f16_e32 v44, v44, v50
	v_fma_f16 v50, v8, 0xbbdd, -v47
	v_mul_f16_e32 v57, 0xb1e1, v66
	v_add_f16_e32 v43, v43, v46
	v_add_f16_e32 v46, v55, v49
	v_mul_f16_e32 v49, 0x3bf7, v64
	v_add_f16_e32 v50, v50, v51
	v_fmamk_f16 v51, v29, 0xbbdd, v57
	v_fmac_f16_e32 v47, 0xbbdd, v8
	v_fma_f16 v55, v29, 0xbbdd, -v57
	v_fma_f16 v57, v8, 0x2de8, -v49
	v_mul_f16_e32 v65, 0x3bf7, v66
	v_add_f16_e32 v51, v51, v58
	v_add_f16_e32 v47, v47, v48
	;; [unrolled: 1-line block ×4, first 2 shown]
	v_fmamk_f16 v55, v29, 0x2de8, v65
	v_mul_f16_e32 v57, 0xb5c8, v64
	v_fma_f16 v59, v29, 0x2de8, -v65
	v_fmac_f16_e32 v49, 0x2de8, v8
	v_mul_f16_e32 v58, 0xb5c8, v66
	v_add_f16_e32 v54, v55, v54
	v_fma_f16 v55, v8, 0x3b76, -v57
	v_add_f16_e32 v53, v59, v53
	v_mul_f16_e32 v59, 0xba62, v64
	v_fmac_f16_e32 v57, 0x3b76, v8
	v_add_f16_e32 v38, v49, v38
	v_fmamk_f16 v49, v29, 0x3b76, v58
	v_add_f16_e32 v55, v55, v61
	v_fma_f16 v58, v29, 0x3b76, -v58
	v_fma_f16 v61, v8, 0xb8d2, -v59
	v_add_f16_e32 v57, v57, v60
	v_sub_f16_e32 v60, v27, v28
	v_add_f16_e32 v49, v49, v62
	v_mul_f16_e32 v62, 0xba62, v66
	v_add_f16_e32 v56, v58, v56
	v_add_f16_e32 v58, v61, v63
	;; [unrolled: 1-line block ×3, first 2 shown]
	v_mul_f16_e32 v64, 0xba62, v60
	v_sub_f16_e32 v3, v3, v6
	v_fmamk_f16 v61, v29, 0xb8d2, v62
	v_fmac_f16_e32 v59, 0xb8d2, v8
	v_fma_f16 v6, v29, 0xb8d2, -v62
	v_add_f16_e32 v8, v28, v27
	v_fma_f16 v27, v63, 0xb8d2, -v64
	v_mul_f16_e32 v28, 0xba62, v3
	v_add_f16_e32 v29, v61, v35
	v_add_f16_e32 v6, v6, v7
	v_mul_f16_e32 v35, 0x3bb2, v3
	v_add_f16_e32 v7, v27, v33
	v_fmamk_f16 v27, v8, 0xb8d2, v28
	v_fma_f16 v28, v8, 0xb8d2, -v28
	v_mul_f16_e32 v33, 0x3bb2, v60
	v_add_f16_e32 v31, v59, v31
	v_mul_f16_e32 v59, 0xb5c8, v60
	v_add_f16_e32 v27, v27, v32
	v_add_f16_e32 v10, v28, v10
	v_fmamk_f16 v28, v8, 0xb461, v35
	v_fma_f16 v32, v63, 0xb461, -v33
	v_fmac_f16_e32 v33, 0xb461, v63
	v_fma_f16 v35, v8, 0xb461, -v35
	v_mul_f16_e32 v61, 0xb836, v3
	v_add_f16_e32 v28, v28, v37
	v_mul_f16_e32 v37, 0xb5c8, v3
	v_add_f16_e32 v32, v32, v36
	v_fma_f16 v36, v63, 0x3b76, -v59
	v_add_f16_e32 v33, v33, v34
	v_add_f16_e32 v34, v35, v39
	v_mul_f16_e32 v35, 0xb836, v60
	v_fmamk_f16 v39, v8, 0x3b76, v37
	v_fma_f16 v37, v8, 0x3b76, -v37
	v_add_f16_e32 v36, v36, v40
	v_fmac_f16_e32 v59, 0x3b76, v63
	v_fma_f16 v40, v63, 0xbacd, -v35
	v_add_f16_e32 v39, v39, v41
	v_add_f16_e32 v37, v37, v42
	v_fmamk_f16 v41, v8, 0xbacd, v61
	v_mul_f16_e32 v42, 0x3bf7, v60
	v_add_f16_e32 v30, v59, v30
	v_add_f16_e32 v40, v40, v45
	v_fmac_f16_e32 v35, 0xbacd, v63
	v_fma_f16 v45, v8, 0xbacd, -v61
	v_mul_f16_e32 v59, 0x3bf7, v3
	v_add_f16_e32 v41, v41, v44
	v_fma_f16 v44, v63, 0x2de8, -v42
	v_add_f16_e32 v35, v35, v43
	v_add_f16_e32 v43, v45, v46
	v_fmamk_f16 v45, v8, 0x2de8, v59
	v_mul_f16_e32 v46, 0xb964, v60
	v_add_f16_e32 v44, v44, v50
	v_fmac_f16_e32 v42, 0x2de8, v63
	v_fma_f16 v50, v8, 0x2de8, -v59
	v_add_f16_e32 v45, v45, v51
	v_fma_f16 v51, v63, 0x39e9, -v46
	v_mul_f16_e32 v59, 0xb964, v3
	v_add_f16_e32 v42, v42, v47
	v_add_f16_e32 v47, v50, v48
	v_mul_f16_e32 v48, 0xb1e1, v60
	v_add_f16_e32 v50, v51, v52
	v_fmamk_f16 v51, v8, 0x39e9, v59
	v_fmac_f16_e32 v46, 0x39e9, v63
	v_fma_f16 v52, v8, 0x39e9, -v59
	v_fma_f16 v59, v63, 0xbbdd, -v48
	v_mul_f16_e32 v61, 0xb1e1, v3
	v_fmac_f16_e32 v48, 0xbbdd, v63
	v_add_f16_e32 v38, v46, v38
	v_add_f16_e32 v46, v52, v53
	;; [unrolled: 1-line block ×3, first 2 shown]
	v_fma_f16 v55, v8, 0xbbdd, -v61
	v_add_f16_e32 v51, v51, v54
	v_fmamk_f16 v53, v8, 0xbbdd, v61
	v_mul_f16_e32 v54, 0x3b29, v60
	v_mul_f16_e32 v3, 0x3b29, v3
	v_add_f16_e32 v48, v48, v57
	v_add_f16_e32 v55, v55, v56
	v_sub_f16_e32 v56, v25, v26
	v_add_f16_e32 v57, v5, v4
	v_sub_f16_e32 v4, v4, v5
	v_add_f16_e32 v49, v53, v49
	v_fma_f16 v53, v63, 0x3722, -v54
	v_fmamk_f16 v59, v8, 0x3722, v3
	v_mul_f16_e32 v5, 0xb836, v56
	v_fmac_f16_e32 v54, 0x3722, v63
	v_fma_f16 v3, v8, 0x3722, -v3
	v_add_f16_e32 v8, v26, v25
	v_mul_f16_e32 v25, 0xb836, v4
	v_fmac_f16_e32 v64, 0xb8d2, v63
	v_fma_f16 v26, v57, 0xbacd, -v5
	v_add_f16_e32 v31, v54, v31
	v_add_f16_e32 v3, v3, v6
	v_mul_f16_e32 v6, 0x3b29, v56
	v_fmamk_f16 v54, v8, 0xbacd, v25
	v_add_f16_e32 v9, v64, v9
	v_add_f16_e32 v7, v26, v7
	v_fmac_f16_e32 v5, 0xbacd, v57
	v_fma_f16 v25, v8, 0xbacd, -v25
	v_fma_f16 v26, v57, 0x3722, -v6
	v_add_f16_e32 v27, v54, v27
	v_mul_f16_e32 v54, 0x3b29, v4
	v_add_f16_e32 v5, v5, v9
	v_add_f16_e32 v9, v25, v10
	;; [unrolled: 1-line block ×3, first 2 shown]
	v_mul_f16_e32 v25, 0xbbf7, v56
	v_fmamk_f16 v26, v8, 0x3722, v54
	v_fma_f16 v32, v8, 0x3722, -v54
	v_mul_f16_e32 v54, 0xbbf7, v4
	v_add_f16_e32 v53, v53, v58
	v_fmac_f16_e32 v6, 0x3722, v57
	v_fma_f16 v58, v57, 0x2de8, -v25
	v_add_f16_e32 v26, v26, v28
	v_add_f16_e32 v28, v32, v34
	v_fmamk_f16 v32, v8, 0x2de8, v54
	v_add_f16_e32 v6, v6, v33
	v_add_f16_e32 v33, v58, v36
	v_mul_f16_e32 v34, 0x3a62, v56
	v_fmac_f16_e32 v25, 0x2de8, v57
	v_fma_f16 v36, v8, 0x2de8, -v54
	v_add_f16_e32 v32, v32, v39
	v_mul_f16_e32 v39, 0x3a62, v4
	v_fma_f16 v54, v57, 0xb8d2, -v34
	v_add_f16_e32 v25, v25, v30
	v_add_f16_e32 v30, v36, v37
	v_mul_f16_e32 v36, 0xb5c8, v56
	v_fmamk_f16 v37, v8, 0xb8d2, v39
	v_fmac_f16_e32 v34, 0xb8d2, v57
	v_fma_f16 v39, v8, 0xb8d2, -v39
	v_add_f16_e32 v40, v54, v40
	v_fma_f16 v54, v57, 0x3b76, -v36
	v_add_f16_e32 v37, v37, v41
	v_mul_f16_e32 v41, 0xb5c8, v4
	v_add_f16_e32 v34, v34, v35
	v_add_f16_e32 v35, v39, v43
	v_mul_f16_e32 v43, 0xb1e1, v56
	v_add_f16_e32 v39, v54, v44
	v_fmamk_f16 v44, v8, 0x3b76, v41
	v_fmac_f16_e32 v36, 0x3b76, v57
	v_fma_f16 v41, v8, 0x3b76, -v41
	v_mul_f16_e32 v54, 0xb1e1, v4
	v_fma_f16 v58, v57, 0xbbdd, -v43
	v_add_f16_e32 v44, v44, v45
	v_add_f16_e32 v36, v36, v42
	;; [unrolled: 1-line block ×3, first 2 shown]
	v_fmamk_f16 v42, v8, 0xbbdd, v54
	v_add_f16_e32 v45, v58, v50
	v_mul_f16_e32 v47, 0x3964, v56
	v_fmac_f16_e32 v43, 0xbbdd, v57
	v_fma_f16 v50, v8, 0xbbdd, -v54
	v_add_f16_e32 v42, v42, v51
	v_mul_f16_e32 v51, 0x3964, v4
	v_fma_f16 v54, v57, 0x39e9, -v47
	v_add_f16_e32 v38, v43, v38
	v_add_f16_e32 v43, v50, v46
	v_mul_f16_e32 v46, 0xbbb2, v56
	v_fmamk_f16 v50, v8, 0x39e9, v51
	v_add_f16_e32 v52, v54, v52
	v_fmac_f16_e32 v47, 0x39e9, v57
	v_fma_f16 v51, v8, 0x39e9, -v51
	v_fma_f16 v54, v57, 0xb461, -v46
	v_add_f16_e32 v49, v50, v49
	v_mul_f16_e32 v4, 0xbbb2, v4
	v_add_f16_e32 v47, v47, v48
	v_add_f16_e32 v48, v51, v55
	;; [unrolled: 1-line block ×3, first 2 shown]
	v_sub_f16_e32 v51, v22, v23
	v_sub_f16_e32 v54, v1, v2
	v_add_f16_e32 v29, v59, v29
	v_fmamk_f16 v53, v8, 0xb461, v4
	v_fmac_f16_e32 v46, 0xb461, v57
	v_add_f16_e32 v1, v2, v1
	v_mul_f16_e32 v2, 0xb1e1, v51
	v_fma_f16 v4, v8, 0xb461, -v4
	v_add_f16_e32 v8, v23, v22
	v_mul_f16_e32 v22, 0xb1e1, v54
	v_add_f16_e32 v23, v53, v29
	v_fma_f16 v29, v1, 0xbbdd, -v2
	v_add_f16_e32 v31, v46, v31
	v_add_f16_e32 v3, v4, v3
	v_fmamk_f16 v4, v8, 0xbbdd, v22
	v_mul_f16_e32 v46, 0x35c8, v51
	v_fmac_f16_e32 v2, 0xbbdd, v1
	v_fma_f16 v22, v8, 0xbbdd, -v22
	v_add_f16_e32 v7, v29, v7
	v_add_f16_e32 v4, v4, v27
	v_fma_f16 v27, v1, 0x3b76, -v46
	v_mul_f16_e32 v29, 0x35c8, v54
	v_add_f16_e32 v2, v2, v5
	v_add_f16_e32 v5, v22, v9
	v_mul_f16_e32 v9, 0xb836, v51
	v_add_f16_e32 v10, v27, v10
	v_fmamk_f16 v22, v8, 0x3b76, v29
	v_fma_f16 v27, v8, 0x3b76, -v29
	v_mul_f16_e32 v53, 0xb836, v54
	v_fma_f16 v29, v1, 0xbacd, -v9
	v_fmac_f16_e32 v46, 0x3b76, v1
	v_add_f16_e32 v22, v22, v26
	v_add_f16_e32 v26, v27, v28
	v_fmamk_f16 v28, v8, 0xbacd, v53
	v_add_f16_e32 v27, v29, v33
	v_mul_f16_e32 v29, 0x3964, v51
	v_add_f16_e32 v6, v46, v6
	v_fmac_f16_e32 v9, 0xbacd, v1
	v_fma_f16 v33, v8, 0xbacd, -v53
	v_mul_f16_e32 v46, 0x3964, v54
	v_add_f16_e32 v28, v28, v32
	v_fma_f16 v32, v1, 0x39e9, -v29
	v_add_f16_e32 v9, v9, v25
	v_add_f16_e32 v25, v33, v30
	v_fmamk_f16 v30, v8, 0x39e9, v46
	v_mul_f16_e32 v33, 0xba62, v51
	v_add_f16_e32 v32, v32, v40
	v_fmac_f16_e32 v29, 0x39e9, v1
	v_fma_f16 v40, v8, 0x39e9, -v46
	v_add_f16_e32 v30, v30, v37
	v_fma_f16 v37, v1, 0xb8d2, -v33
	v_mul_f16_e32 v46, 0xba62, v54
	v_add_f16_e32 v29, v29, v34
	v_add_f16_e32 v34, v40, v35
	v_mul_f16_e32 v35, 0x3b29, v51
	v_add_f16_e32 v37, v37, v39
	v_fmamk_f16 v39, v8, 0xb8d2, v46
	v_fmac_f16_e32 v33, 0xb8d2, v1
	v_fma_f16 v40, v8, 0xb8d2, -v46
	v_fma_f16 v46, v1, 0x3722, -v35
	v_mul_f16_e32 v53, 0x3b29, v54
	v_add_f16_e32 v39, v39, v44
	v_add_f16_e32 v33, v33, v36
	;; [unrolled: 1-line block ×4, first 2 shown]
	v_fmamk_f16 v41, v8, 0x3722, v53
	v_mul_f16_e32 v44, 0xbbb2, v51
	v_fmac_f16_e32 v35, 0x3722, v1
	v_fma_f16 v45, v8, 0x3722, -v53
	v_mul_f16_e32 v46, 0xbbb2, v54
	v_add_f16_e32 v41, v41, v42
	v_fma_f16 v42, v1, 0xb461, -v44
	v_add_f16_e32 v35, v35, v38
	v_add_f16_e32 v38, v45, v43
	v_fmac_f16_e32 v44, 0xb461, v1
	v_mul_f16_e32 v45, 0x3bf7, v51
	v_mul_f16_e32 v51, 0x3bf7, v54
	v_fmamk_f16 v43, v8, 0xb461, v46
	v_fma_f16 v46, v8, 0xb461, -v46
	v_add_f16_e32 v44, v44, v47
	v_fma_f16 v47, v1, 0x2de8, -v45
	v_fmac_f16_e32 v45, 0x2de8, v1
	v_fma_f16 v1, v8, 0x2de8, -v51
	v_add_f16_e32 v43, v43, v49
	v_fmamk_f16 v49, v8, 0x2de8, v51
	v_add_f16_e32 v42, v42, v52
	v_add_f16_e32 v8, v46, v48
	v_add_f16_e32 v1, v1, v3
	v_mul_u32_u24_e32 v3, 0x1dc, v20
	v_add_f16_e32 v46, v47, v50
	v_add_f16_e32 v23, v49, v23
	v_add_f16_e32 v31, v45, v31
	v_pack_b32_f16 v4, v7, v4
	v_add3_u32 v3, 0, v3, v21
	v_pack_b32_f16 v7, v10, v22
	v_pack_b32_f16 v10, v27, v28
	;; [unrolled: 1-line block ×8, first 2 shown]
	ds_store_2addr_b32 v3, v24, v4 offset1:7
	ds_store_2addr_b32 v3, v7, v10 offset0:14 offset1:21
	ds_store_2addr_b32 v3, v21, v22 offset0:28 offset1:35
	;; [unrolled: 1-line block ×4, first 2 shown]
	v_add_nc_u32_e32 v10, s24, v11
	v_pack_b32_f16 v1, v44, v8
	v_pack_b32_f16 v4, v35, v38
	;; [unrolled: 1-line block ×4, first 2 shown]
	v_cmp_gt_u32_e32 vcc_lo, s33, v10
	v_pack_b32_f16 v8, v29, v34
	v_pack_b32_f16 v9, v9, v25
	;; [unrolled: 1-line block ×3, first 2 shown]
	ds_store_2addr_b32 v3, v1, v4 offset0:70 offset1:77
	ds_store_2addr_b32 v3, v7, v8 offset0:84 offset1:91
	;; [unrolled: 1-line block ×3, first 2 shown]
	s_or_b32 s0, s15, vcc_lo
	ds_store_b32 v3, v2 offset:448
	global_wb scope:SCOPE_SE
	s_wait_dscnt 0x0
	s_barrier_signal -1
	s_barrier_wait -1
	global_inv scope:SCOPE_SE
	s_wait_alu 0xfffe
	s_and_saveexec_b32 s1, s0
	s_cbranch_execz .LBB0_18
; %bb.17:
	v_mul_hi_u32 v1, 0xf0f0f10, v20
	s_mul_u64 s[0:1], s[6:7], s[22:23]
	s_wait_alu 0xfffe
	s_lshl_b64 s[0:1], s[0:1], 2
	s_wait_alu 0xfffe
	s_add_nc_u64 s[0:1], s[2:3], s[0:1]
	s_lshl_b64 s[2:3], s[20:21], 2
	s_wait_alu 0xfffe
	s_add_nc_u64 s[0:1], s[0:1], s[2:3]
	v_mul_u32_u24_e32 v1, 17, v1
	s_mul_i32 s2, s14, 17
	s_delay_alu instid0(VALU_DEP_1) | instskip(NEXT) | instid1(VALU_DEP_1)
	v_sub_nc_u32_e32 v3, v20, v1
	v_lshlrev_b32_e32 v1, 6, v3
	s_clause 0x3
	global_load_b128 v[20:23], v1, s[4:5] offset:16
	global_load_b128 v[32:35], v1, s[4:5] offset:32
	global_load_b128 v[40:43], v1, s[4:5]
	global_load_b128 v[47:50], v1, s[4:5] offset:48
	ds_load_2addr_b32 v[25:26], v17 offset0:56 offset1:175
	ds_load_2addr_b32 v[28:29], v16 offset0:74 offset1:193
	ds_load_2addr_b32 v[36:37], v18 offset0:38 offset1:157
	ds_load_2addr_b32 v[45:46], v15 offset0:92 offset1:211
	ds_load_2addr_b32 v[18:19], v19 offset0:20 offset1:139
	ds_load_2addr_b32 v[51:52], v14 offset0:130 offset1:249
	ds_load_2addr_b32 v[53:54], v13 offset0:110 offset1:229
	ds_load_2addr_b32 v[1:2], v12 offset1:119
	ds_load_b32 v38, v12 offset:7616
	ds_load_u16 v16, v12 offset:1430
	s_wait_dscnt 0x9
	v_lshrrev_b32_e32 v55, 16, v26
	s_wait_dscnt 0x8
	v_lshrrev_b32_e32 v58, 16, v28
	;; [unrolled: 2-line block ×3, first 2 shown]
	v_lshrrev_b32_e32 v59, 16, v37
	s_wait_dscnt 0x6
	v_lshrrev_b32_e32 v60, 16, v46
	s_wait_dscnt 0x5
	v_lshrrev_b32_e32 v61, 16, v18
	v_lshrrev_b32_e32 v62, 16, v45
	s_wait_dscnt 0x3
	v_lshrrev_b32_e32 v65, 16, v53
	;; [unrolled: 3-line block ×3, first 2 shown]
	s_wait_dscnt 0x1
	v_lshrrev_b32_e32 v68, 16, v38
	v_lshrrev_b32_e32 v30, 16, v25
	;; [unrolled: 1-line block ×6, first 2 shown]
	s_wait_loadcnt 0x3
	v_lshrrev_b32_e32 v4, 16, v20
	s_wait_loadcnt 0x2
	v_lshrrev_b32_e32 v8, 16, v32
	v_lshrrev_b32_e32 v9, 16, v33
	v_lshrrev_b32_e32 v24, 16, v34
	v_lshrrev_b32_e32 v27, 16, v35
	s_wait_loadcnt 0x1
	v_lshrrev_b32_e32 v69, 16, v40
	v_lshrrev_b32_e32 v44, 16, v41
	v_lshrrev_b32_e32 v39, 16, v42
	;; [unrolled: 5-line block ×3, first 2 shown]
	v_mul_f16_e32 v12, v26, v8
	v_mul_f16_e32 v75, v55, v8
	;; [unrolled: 1-line block ×13, first 2 shown]
	s_wait_dscnt 0x0
	v_mul_f16_e32 v83, v16, v39
	v_mul_f16_e32 v39, v44, v53
	;; [unrolled: 1-line block ×5, first 2 shown]
	v_lshrrev_b32_e32 v6, 16, v22
	v_lshrrev_b32_e32 v7, 16, v23
	v_lshrrev_b32_e32 v70, 16, v47
	v_mul_f16_e32 v17, v28, v5
	v_mul_f16_e32 v78, v58, v5
	;; [unrolled: 1-line block ×6, first 2 shown]
	v_fmac_f16_e32 v44, v40, v67
	v_fmac_f16_e32 v4, v68, v50
	v_mul_f16_e32 v14, v25, v7
	v_mul_f16_e32 v74, v30, v7
	;; [unrolled: 1-line block ×6, first 2 shown]
	v_fmac_f16_e32 v10, v57, v33
	v_fmac_f16_e32 v31, v16, v42
	;; [unrolled: 1-line block ×4, first 2 shown]
	v_fma_f16 v16, v52, v49, -v72
	v_fma_f16 v49, v40, v2, -v69
	v_fma_f16 v2, v38, v50, -v73
	v_sub_f16_e32 v57, v44, v4
	v_fmac_f16_e32 v14, v30, v23
	v_fmac_f16_e32 v12, v55, v32
	v_fma_f16 v25, v25, v23, -v74
	v_fma_f16 v23, v26, v32, -v75
	v_fmac_f16_e32 v15, v56, v22
	v_fma_f16 v26, v29, v22, -v76
	v_fma_f16 v22, v36, v33, -v77
	v_fmac_f16_e32 v24, v60, v20
	v_fma_f16 v30, v46, v20, -v80
	v_fmac_f16_e32 v7, v63, v47
	v_fma_f16 v19, v19, v47, -v70
	v_fma_f16 v47, v41, v53, -v84
	v_add_f16_e32 v60, v44, v4
	v_sub_f16_e32 v55, v39, v5
	v_add_f16_e32 v46, v49, v2
	v_mul_f16_e32 v77, 0xb1e1, v57
	v_fmac_f16_e32 v17, v58, v21
	v_fmac_f16_e32 v9, v59, v34
	v_fma_f16 v28, v28, v21, -v78
	v_fma_f16 v21, v37, v34, -v79
	v_fmac_f16_e32 v27, v62, v43
	v_fma_f16 v37, v45, v43, -v82
	v_add_f16_e32 v59, v39, v5
	v_sub_f16_e32 v45, v49, v2
	v_add_f16_e32 v43, v47, v16
	v_mul_f16_e32 v74, 0xbbdd, v60
	v_mul_f16_e32 v76, 0x35c8, v55
	v_fmamk_f16 v114, v46, 0xbbdd, v77
	v_fma_f16 v77, v46, 0xbbdd, -v77
	v_fma_f16 v20, v18, v35, -v81
	v_sub_f16_e32 v41, v47, v16
	v_mul_f16_e32 v73, 0x3b76, v59
	v_mul_f16_e32 v81, 0xb836, v57
	v_fmamk_f16 v112, v45, 0x31e1, v74
	v_fmamk_f16 v113, v43, 0x3b76, v76
	v_fmac_f16_e32 v74, 0xb1e1, v45
	v_fma_f16 v76, v43, 0x3b76, -v76
	v_add_f16_e32 v77, v77, v1
	v_mul_f16_e32 v79, 0xbacd, v60
	v_mul_f16_e32 v80, 0x3b29, v55
	v_fmamk_f16 v111, v41, 0xb5c8, v73
	v_fmac_f16_e32 v73, 0x35c8, v41
	v_add_f16_e32 v114, v114, v1
	v_add_f16_e32 v74, v74, v13
	;; [unrolled: 1-line block ×3, first 2 shown]
	v_fmamk_f16 v77, v46, 0xbacd, v81
	v_lshrrev_b32_e32 v71, 16, v48
	v_fma_f16 v42, v42, v54, -v83
	v_mul_f16_e32 v78, 0x3722, v59
	v_mul_f16_e32 v83, 0xb8d2, v60
	v_add_f16_e32 v112, v112, v13
	v_add_f16_e32 v113, v113, v114
	v_fmamk_f16 v114, v45, 0x3836, v79
	v_add_f16_e32 v73, v73, v74
	v_fmamk_f16 v74, v43, 0x3722, v80
	v_fma_f16 v81, v46, 0xbacd, -v81
	v_add_f16_e32 v77, v77, v1
	v_mul_f16_e32 v6, v51, v71
	v_mul_f16_e32 v82, 0xb461, v59
	;; [unrolled: 1-line block ×3, first 2 shown]
	v_add_f16_e32 v111, v111, v112
	v_fmamk_f16 v112, v41, 0xbb29, v78
	v_fmac_f16_e32 v79, 0xb836, v45
	v_add_f16_e32 v114, v114, v13
	v_fma_f16 v80, v43, 0x3722, -v80
	v_add_f16_e32 v81, v81, v1
	v_add_f16_e32 v74, v74, v77
	v_fmamk_f16 v77, v45, 0x3a62, v83
	v_mul_f16_e32 v71, v64, v71
	v_fmac_f16_e32 v6, v64, v48
	v_mul_f16_e32 v84, 0x3bb2, v55
	v_mul_f16_e32 v87, 0xb461, v60
	v_fmac_f16_e32 v78, 0x3b29, v41
	v_add_f16_e32 v79, v79, v13
	v_add_f16_e32 v112, v112, v114
	v_fmamk_f16 v114, v41, 0xbbb2, v82
	v_add_f16_e32 v80, v80, v81
	v_fmamk_f16 v81, v46, 0xb8d2, v85
	v_add_f16_e32 v77, v77, v13
	v_fma_f16 v18, v51, v48, -v71
	v_sub_f16_e32 v52, v31, v6
	v_mul_f16_e32 v86, 0xbacd, v59
	v_add_f16_e32 v78, v78, v79
	v_fmamk_f16 v79, v43, 0xb461, v84
	v_add_f16_e32 v81, v81, v1
	v_add_f16_e32 v77, v114, v77
	v_fmamk_f16 v114, v45, 0x3bb2, v87
	v_add_f16_e32 v40, v42, v18
	v_mul_f16_e32 v75, 0xb836, v52
	v_add_f16_e32 v79, v79, v81
	v_fmamk_f16 v81, v41, 0xb836, v86
	v_add_f16_e32 v114, v114, v13
	v_mul_f16_e32 v89, 0xbbf7, v52
	v_add_f16_e32 v58, v31, v6
	v_mul_f16_e32 v91, 0xb5c8, v52
	v_sub_f16_e32 v38, v42, v18
	v_add_f16_e32 v81, v81, v114
	v_fmamk_f16 v114, v40, 0xbacd, v75
	v_fma_f16 v75, v40, 0xbacd, -v75
	v_sub_f16_e32 v51, v27, v7
	v_mul_f16_e32 v92, 0x39e9, v58
	v_add_f16_e32 v36, v37, v19
	v_fmac_f16_e32 v83, 0xba62, v45
	v_add_f16_e32 v75, v75, v76
	v_fmamk_f16 v76, v40, 0x2de8, v89
	v_fma_f16 v89, v40, 0x2de8, -v89
	v_mul_f16_e32 v93, 0x3964, v51
	v_mul_f16_e32 v95, 0x3a62, v51
	v_fmac_f16_e32 v8, v61, v35
	v_add_f16_e32 v56, v27, v7
	v_add_f16_e32 v80, v89, v80
	v_fmamk_f16 v89, v40, 0x3b76, v91
	v_mul_f16_e32 v72, 0xbacd, v58
	v_mul_f16_e32 v90, 0x3b76, v58
	;; [unrolled: 1-line block ×3, first 2 shown]
	v_fmac_f16_e32 v82, 0x3bb2, v41
	v_add_f16_e32 v79, v89, v79
	v_fmamk_f16 v89, v38, 0xb964, v92
	v_add_f16_e32 v83, v83, v13
	v_add_f16_e32 v54, v24, v8
	v_sub_f16_e32 v35, v37, v19
	v_sub_f16_e32 v50, v24, v8
	v_add_f16_e32 v81, v89, v81
	v_fmamk_f16 v89, v36, 0x39e9, v93
	v_fma_f16 v93, v36, 0x39e9, -v93
	v_mul_f16_e32 v71, 0x39e9, v56
	v_mul_f16_e32 v88, 0x2de8, v58
	;; [unrolled: 1-line block ×4, first 2 shown]
	v_add_f16_e32 v75, v93, v75
	v_fmamk_f16 v93, v36, 0xb8d2, v95
	v_fma_f16 v95, v36, 0xb8d2, -v95
	v_add_f16_e32 v82, v82, v83
	v_fmamk_f16 v83, v38, 0x3836, v72
	v_fmac_f16_e32 v72, 0xb836, v38
	v_add_f16_e32 v74, v76, v74
	v_fmamk_f16 v76, v38, 0x35c8, v90
	v_fmac_f16_e32 v90, 0xb5c8, v38
	v_add_f16_e32 v80, v95, v80
	v_fmamk_f16 v95, v36, 0xbacd, v97
	v_sub_f16_e32 v32, v30, v20
	v_add_f16_e32 v34, v30, v20
	v_mul_f16_e32 v69, 0xb8d2, v54
	v_mul_f16_e32 v94, 0xb8d2, v56
	;; [unrolled: 1-line block ×3, first 2 shown]
	v_fma_f16 v85, v46, 0xb8d2, -v85
	v_add_f16_e32 v113, v114, v113
	v_fmamk_f16 v114, v38, 0x3bf7, v88
	v_add_f16_e32 v72, v72, v73
	v_fmac_f16_e32 v88, 0xbbf7, v38
	v_add_f16_e32 v82, v90, v82
	v_fmamk_f16 v90, v35, 0xb964, v71
	v_fmac_f16_e32 v71, 0x3964, v35
	v_add_f16_e32 v74, v93, v74
	v_fmamk_f16 v93, v35, 0x3836, v96
	;; [unrolled: 3-line block ×3, first 2 shown]
	v_mul_f16_e32 v100, 0x3b76, v54
	v_mul_f16_e32 v101, 0xb5c8, v50
	v_fma_f16 v84, v43, 0xb461, -v84
	v_add_f16_e32 v85, v85, v1
	v_add_f16_e32 v78, v88, v78
	;; [unrolled: 1-line block ×3, first 2 shown]
	v_fmamk_f16 v113, v35, 0xba62, v94
	v_add_f16_e32 v71, v71, v72
	v_fmac_f16_e32 v94, 0x3a62, v35
	v_add_f16_e32 v82, v96, v82
	v_fmamk_f16 v96, v32, 0x3a62, v69
	v_add_f16_e32 v81, v95, v81
	v_fmamk_f16 v95, v34, 0xb8d2, v99
	v_fmac_f16_e32 v69, 0xba62, v32
	v_fma_f16 v99, v34, 0xb8d2, -v99
	v_add_f16_e32 v53, v17, v9
	v_sub_f16_e32 v48, v17, v9
	v_mul_f16_e32 v102, 0x2de8, v54
	v_mul_f16_e32 v103, 0x3bf7, v50
	v_add_f16_e32 v84, v84, v85
	v_add_f16_e32 v83, v83, v111
	;; [unrolled: 1-line block ×3, first 2 shown]
	v_fma_f16 v91, v40, 0x3b76, -v91
	v_add_f16_e32 v78, v94, v78
	v_add_f16_e32 v89, v95, v89
	v_fmamk_f16 v95, v32, 0x35c8, v100
	v_add_f16_e32 v69, v69, v71
	v_add_f16_e32 v71, v99, v75
	v_fmamk_f16 v75, v34, 0x3b76, v101
	v_fmac_f16_e32 v100, 0xb5c8, v32
	v_sub_f16_e32 v29, v28, v21
	v_add_f16_e32 v33, v28, v21
	v_add_f16_e32 v70, v15, v10
	v_sub_f16_e32 v64, v15, v10
	v_mul_f16_e32 v68, 0x3722, v53
	v_mul_f16_e32 v105, 0x3b29, v48
	v_add_f16_e32 v84, v91, v84
	v_add_f16_e32 v83, v90, v83
	;; [unrolled: 1-line block ×3, first 2 shown]
	v_fma_f16 v97, v36, 0xbacd, -v97
	v_add_f16_e32 v74, v75, v74
	v_fmamk_f16 v75, v32, 0xbbf7, v102
	v_add_f16_e32 v78, v100, v78
	v_fmamk_f16 v100, v34, 0x2de8, v103
	v_sub_f16_e32 v62, v26, v22
	v_add_f16_e32 v61, v26, v22
	v_mul_f16_e32 v104, 0xbbdd, v54
	v_mul_f16_e32 v107, 0xb1e1, v48
	;; [unrolled: 1-line block ×5, first 2 shown]
	v_add_f16_e32 v112, v114, v112
	v_add_f16_e32 v84, v97, v84
	;; [unrolled: 1-line block ×3, first 2 shown]
	v_fma_f16 v101, v34, 0x3b76, -v101
	v_fma_f16 v103, v34, 0x2de8, -v103
	v_add_f16_e32 v75, v75, v76
	v_fmamk_f16 v76, v29, 0xbb29, v68
	v_add_f16_e32 v79, v100, v79
	v_fmamk_f16 v100, v33, 0x3722, v105
	v_fmac_f16_e32 v68, 0x3b29, v29
	v_fma_f16 v105, v33, 0x3722, -v105
	v_add_f16_e32 v67, v14, v12
	v_sub_f16_e32 v66, v14, v12
	v_mul_f16_e32 v106, 0xbbdd, v53
	v_mul_f16_e32 v108, 0x39e9, v53
	;; [unrolled: 1-line block ×4, first 2 shown]
	v_add_f16_e32 v112, v113, v112
	v_mul_f16_e32 v96, 0xbbb2, v57
	v_fmac_f16_e32 v102, 0x3bf7, v32
	v_add_f16_e32 v80, v101, v80
	v_fmamk_f16 v101, v32, 0x31e1, v104
	v_add_f16_e32 v84, v103, v84
	v_fmamk_f16 v103, v33, 0xbbdd, v107
	v_fma_f16 v107, v33, 0xbbdd, -v107
	v_add_f16_e32 v76, v76, v83
	v_fmamk_f16 v83, v33, 0x39e9, v109
	v_add_f16_e32 v89, v100, v89
	v_add_f16_e32 v68, v68, v69
	v_fmamk_f16 v69, v62, 0x3bb2, v85
	v_add_f16_e32 v71, v105, v71
	v_fmamk_f16 v105, v61, 0xb461, v111
	v_sub_f16_e32 v65, v25, v23
	v_add_f16_e32 v63, v25, v23
	v_mul_f16_e32 v73, 0x39e9, v70
	v_mul_f16_e32 v114, 0x3964, v64
	;; [unrolled: 1-line block ×7, first 2 shown]
	v_add_f16_e32 v95, v95, v112
	v_add_f16_e32 v82, v102, v82
	v_fmamk_f16 v102, v29, 0x31e1, v106
	v_fmac_f16_e32 v106, 0xb1e1, v29
	v_add_f16_e32 v81, v101, v81
	v_fmamk_f16 v101, v29, 0x3964, v108
	v_fmac_f16_e32 v108, 0xb964, v29
	v_fmamk_f16 v100, v29, 0xbbf7, v110
	v_fmac_f16_e32 v85, 0xbbb2, v62
	v_add_f16_e32 v80, v107, v80
	v_fmamk_f16 v107, v61, 0xbbdd, v77
	v_add_f16_e32 v79, v83, v79
	v_add_f16_e32 v69, v69, v76
	;; [unrolled: 1-line block ×3, first 2 shown]
	v_fmamk_f16 v89, v46, 0xb461, v96
	v_mul_f16_e32 v113, 0xb461, v67
	v_mul_f16_e32 v94, 0xbbb2, v66
	;; [unrolled: 1-line block ×4, first 2 shown]
	v_fma_f16 v109, v33, 0x39e9, -v109
	v_add_f16_e32 v95, v102, v95
	v_fmamk_f16 v102, v62, 0xb964, v73
	v_fmac_f16_e32 v73, 0x3964, v62
	v_fma_f16 v112, v61, 0x39e9, -v114
	v_add_f16_e32 v78, v106, v78
	v_fmamk_f16 v106, v62, 0x31e1, v88
	v_fmac_f16_e32 v88, 0xb1e1, v62
	v_add_f16_e32 v75, v101, v75
	v_fmamk_f16 v101, v62, 0x35c8, v91
	v_fmamk_f16 v83, v65, 0xbbf7, v90
	v_add_f16_e32 v82, v108, v82
	v_add_f16_e32 v81, v100, v81
	;; [unrolled: 1-line block ×3, first 2 shown]
	v_fmamk_f16 v85, v63, 0x3722, v97
	v_fmamk_f16 v105, v43, 0xbacd, v115
	v_add_f16_e32 v89, v89, v1
	v_add_f16_e32 v79, v107, v79
	v_add_f16_e32 v74, v103, v74
	v_fmamk_f16 v103, v61, 0x39e9, v114
	v_fma_f16 v77, v61, 0xbbdd, -v77
	v_add_f16_e32 v84, v109, v84
	v_fmamk_f16 v109, v65, 0x3bb2, v113
	v_fmamk_f16 v100, v63, 0xb461, v94
	v_fmac_f16_e32 v113, 0xbbb2, v65
	v_fma_f16 v94, v63, 0xb461, -v94
	v_fmamk_f16 v114, v65, 0xbb29, v93
	v_fmac_f16_e32 v93, 0x3b29, v65
	v_add_f16_e32 v78, v73, v78
	v_add_f16_e32 v80, v112, v80
	;; [unrolled: 1-line block ×7, first 2 shown]
	v_fmamk_f16 v81, v40, 0x39e9, v99
	v_mul_f16_e32 v83, 0xbb29, v51
	v_fmac_f16_e32 v87, 0xbbb2, v45
	v_fmac_f16_e32 v90, 0x3bf7, v65
	v_add_f16_e32 v84, v77, v84
	v_add_f16_e32 v77, v113, v78
	;; [unrolled: 1-line block ×4, first 2 shown]
	v_fma_f16 v82, v63, 0x3722, -v97
	v_add_f16_e32 v79, v81, v79
	v_fmamk_f16 v81, v36, 0x3722, v83
	v_mul_f16_e32 v85, 0xb1e1, v50
	v_fmac_f16_e32 v86, 0x3836, v41
	v_add_f16_e32 v87, v87, v13
	v_add_f16_e32 v95, v102, v95
	;; [unrolled: 1-line block ×6, first 2 shown]
	v_fmamk_f16 v90, v34, 0xbbdd, v85
	v_add_f16_e32 v81, v82, v84
	v_add_f16_e32 v82, v86, v87
	v_fma_f16 v86, v46, 0xb461, -v96
	v_fmac_f16_e32 v92, 0x3964, v38
	v_add_f16_e32 v79, v90, v79
	v_fma_f16 v90, v43, 0xbacd, -v115
	v_mul_f16_e32 v89, 0xb8d2, v67
	v_add_f16_e32 v86, v86, v1
	v_mul_f16_e32 v87, 0x3bf7, v48
	v_add_f16_e32 v82, v92, v82
	v_fmac_f16_e32 v98, 0xbb29, v35
	v_fmamk_f16 v84, v65, 0x3a62, v89
	v_add_f16_e32 v86, v90, v86
	v_fma_f16 v90, v40, 0x39e9, -v99
	v_fmamk_f16 v92, v33, 0x2de8, v87
	v_mul_f16_e32 v93, 0xb5c8, v64
	v_add_f16_e32 v82, v98, v82
	v_fmac_f16_e32 v104, 0xb1e1, v32
	v_add_f16_e32 v86, v90, v86
	v_fma_f16 v83, v36, 0x3722, -v83
	v_mul_f16_e32 v72, 0x3bf7, v66
	v_fma_f16 v111, v61, 0xb461, -v111
	v_add_f16_e32 v92, v92, v79
	v_fmamk_f16 v94, v61, 0x3b76, v93
	v_add_f16_e32 v82, v104, v82
	v_fmac_f16_e32 v110, 0x3bf7, v29
	v_add_f16_e32 v79, v84, v88
	v_mul_f16_e32 v88, 0x2de8, v60
	v_add_f16_e32 v83, v83, v86
	v_fma_f16 v85, v34, 0xbbdd, -v85
	v_mul_f16_e32 v86, 0xba62, v66
	v_fmamk_f16 v108, v63, 0x2de8, v72
	v_fma_f16 v72, v63, 0x2de8, -v72
	v_add_f16_e32 v71, v111, v71
	v_add_f16_e32 v84, v94, v92
	;; [unrolled: 1-line block ×3, first 2 shown]
	v_fmac_f16_e32 v91, 0xb5c8, v62
	v_fmamk_f16 v90, v45, 0x3bf7, v88
	v_mul_f16_e32 v92, 0xbbdd, v59
	v_add_f16_e32 v83, v85, v83
	v_fmamk_f16 v85, v63, 0xb8d2, v86
	v_add_f16_e32 v74, v108, v76
	v_add_f16_e32 v76, v72, v71
	;; [unrolled: 1-line block ×5, first 2 shown]
	v_fmamk_f16 v94, v41, 0x31e1, v92
	v_mul_f16_e32 v95, 0xb461, v58
	v_add_f16_e32 v82, v85, v84
	v_fma_f16 v84, v33, 0x2de8, -v87
	v_fmac_f16_e32 v89, 0xba62, v65
	v_add_f16_e32 v85, v94, v90
	v_fmamk_f16 v87, v38, 0xbbb2, v95
	v_mul_f16_e32 v90, 0x3b76, v56
	v_add_f16_e32 v83, v84, v83
	v_add_f16_e32 v84, v89, v91
	v_mul_f16_e32 v89, 0xbbf7, v57
	v_add_f16_e32 v85, v87, v85
	v_fmamk_f16 v87, v35, 0xb5c8, v90
	v_mul_f16_e32 v91, 0x3722, v54
	v_mul_f16_e32 v96, 0xb1e1, v55
	v_fmamk_f16 v94, v46, 0x2de8, v89
	v_fma_f16 v93, v61, 0x3b76, -v93
	v_add_f16_e32 v85, v87, v85
	v_fmamk_f16 v87, v32, 0x3b29, v91
	v_mul_f16_e32 v97, 0xbacd, v53
	v_add_f16_e32 v94, v94, v1
	v_fmamk_f16 v98, v43, 0xbbdd, v96
	v_mul_f16_e32 v99, 0x3bb2, v52
	v_add_f16_e32 v83, v93, v83
	v_add_f16_e32 v85, v87, v85
	v_fmamk_f16 v87, v29, 0x3836, v97
	v_add_f16_e32 v93, v98, v94
	v_fmamk_f16 v94, v40, 0xb461, v99
	v_mul_f16_e32 v98, 0x35c8, v51
	v_add_f16_e32 v72, v100, v102
	v_mul_f16_e32 v100, 0xb8d2, v70
	v_add_f16_e32 v85, v87, v85
	v_add_f16_e32 v87, v94, v93
	v_fmamk_f16 v93, v36, 0x3b76, v98
	v_mul_f16_e32 v94, 0xbb29, v50
	v_fmac_f16_e32 v88, 0xbbf7, v45
	v_add_f16_e32 v68, v114, v103
	v_fmamk_f16 v101, v62, 0xba62, v100
	v_mul_f16_e32 v102, 0x39e9, v67
	v_add_f16_e32 v87, v93, v87
	v_fmamk_f16 v93, v34, 0x3722, v94
	v_mul_f16_e32 v103, 0xb836, v48
	v_fmac_f16_e32 v92, 0xb1e1, v41
	v_add_f16_e32 v88, v88, v13
	v_fma_f16 v86, v63, 0xb8d2, -v86
	v_add_f16_e32 v85, v101, v85
	v_fmamk_f16 v101, v65, 0xb964, v102
	v_add_f16_e32 v87, v93, v87
	v_fmamk_f16 v93, v33, 0xbacd, v103
	v_add_f16_e32 v88, v92, v88
	v_fmac_f16_e32 v95, 0x3bb2, v38
	v_add_f16_e32 v86, v86, v83
	v_add_f16_e32 v83, v101, v85
	v_mul_f16_e32 v92, 0x3a62, v64
	v_add_f16_e32 v85, v93, v87
	v_add_f16_e32 v87, v95, v88
	v_fma_f16 v88, v46, 0x2de8, -v89
	v_fmac_f16_e32 v90, 0x35c8, v35
	v_fmamk_f16 v89, v61, 0xb8d2, v92
	v_mul_f16_e32 v93, 0x3964, v66
	v_fma_f16 v95, v43, 0xbbdd, -v96
	v_add_f16_e32 v88, v88, v1
	v_add_f16_e32 v87, v90, v87
	v_fmac_f16_e32 v91, 0xbb29, v32
	v_add_f16_e32 v85, v89, v85
	v_fmamk_f16 v89, v63, 0x39e9, v93
	v_add_f16_e32 v88, v95, v88
	v_fma_f16 v90, v40, 0xb461, -v99
	v_add_f16_e32 v87, v91, v87
	v_mul_f16_e32 v91, 0x3722, v60
	v_add_f16_e32 v85, v89, v85
	v_fma_f16 v89, v36, 0x3b76, -v98
	v_add_f16_e32 v88, v90, v88
	v_fmac_f16_e32 v97, 0xb836, v29
	v_fmamk_f16 v90, v45, 0x3b29, v91
	v_mul_f16_e32 v95, 0xb8d2, v59
	v_fmac_f16_e32 v100, 0x3a62, v62
	v_add_f16_e32 v88, v89, v88
	v_fma_f16 v89, v34, 0x3722, -v94
	v_add_f16_e32 v87, v97, v87
	v_add_f16_e32 v90, v90, v13
	v_fmamk_f16 v94, v41, 0x3a62, v95
	v_mul_f16_e32 v96, 0xbbdd, v58
	v_add_f16_e32 v88, v89, v88
	v_fma_f16 v89, v33, 0xbacd, -v103
	v_add_f16_e32 v87, v100, v87
	v_add_f16_e32 v90, v94, v90
	v_fmamk_f16 v94, v38, 0xb1e1, v96
	v_mul_f16_e32 v97, 0xb461, v56
	v_fmac_f16_e32 v102, 0x3964, v65
	v_add_f16_e32 v89, v89, v88
	v_fma_f16 v92, v61, 0xb8d2, -v92
	v_add_f16_e32 v90, v94, v90
	v_fmamk_f16 v94, v35, 0xbbb2, v97
	v_mul_f16_e32 v98, 0x39e9, v54
	v_add_f16_e32 v88, v102, v87
	v_add_f16_e32 v87, v92, v89
	v_mul_f16_e32 v89, 0xbb29, v57
	v_add_f16_e32 v90, v94, v90
	v_fmamk_f16 v92, v32, 0xb964, v98
	v_mul_f16_e32 v94, 0x3b76, v53
	v_mul_f16_e32 v100, 0xba62, v55
	v_fmamk_f16 v99, v46, 0x3722, v89
	v_fma_f16 v93, v63, 0x39e9, -v93
	v_add_f16_e32 v90, v92, v90
	v_fmamk_f16 v92, v29, 0x35c8, v94
	v_mul_f16_e32 v101, 0x2de8, v70
	v_add_f16_e32 v99, v99, v1
	v_fmamk_f16 v102, v43, 0xb8d2, v100
	v_mul_f16_e32 v103, 0x31e1, v52
	v_add_f16_e32 v92, v92, v90
	v_fmamk_f16 v104, v62, 0x3bf7, v101
	v_add_f16_e32 v90, v93, v87
	v_add_f16_e32 v87, v102, v99
	v_fmamk_f16 v93, v40, 0xbbdd, v103
	v_mul_f16_e32 v99, 0x3bb2, v51
	v_fmac_f16_e32 v91, 0xbb29, v45
	v_add_f16_e32 v92, v104, v92
	v_mul_f16_e32 v102, 0xbacd, v67
	v_add_f16_e32 v87, v93, v87
	v_fmamk_f16 v93, v36, 0xb461, v99
	v_mul_f16_e32 v104, 0x3964, v50
	v_fmac_f16_e32 v95, 0xba62, v41
	v_add_f16_e32 v91, v91, v13
	v_fmamk_f16 v105, v65, 0x3836, v102
	v_add_f16_e32 v93, v93, v87
	v_fmamk_f16 v106, v34, 0x39e9, v104
	v_mul_f16_e32 v107, 0xb5c8, v48
	v_add_f16_e32 v91, v95, v91
	v_fmac_f16_e32 v96, 0x31e1, v38
	v_fma_f16 v89, v46, 0x3722, -v89
	v_add_f16_e32 v87, v105, v92
	v_add_f16_e32 v92, v106, v93
	v_fmamk_f16 v93, v33, 0x3b76, v107
	v_add_f16_e32 v91, v96, v91
	v_fmac_f16_e32 v97, 0x3bb2, v35
	v_mul_f16_e32 v95, 0xbbf7, v64
	v_fma_f16 v96, v43, 0xb8d2, -v100
	v_add_f16_e32 v89, v89, v1
	v_add_f16_e32 v92, v93, v92
	;; [unrolled: 1-line block ×3, first 2 shown]
	v_fmac_f16_e32 v98, 0x3964, v32
	v_fmamk_f16 v93, v61, 0x2de8, v95
	v_add_f16_e32 v89, v96, v89
	v_fma_f16 v96, v40, 0xbbdd, -v103
	v_mul_f16_e32 v97, 0xb836, v66
	v_add_f16_e32 v91, v98, v91
	v_fmac_f16_e32 v94, 0xb5c8, v29
	v_add_f16_e32 v92, v93, v92
	v_add_f16_e32 v89, v96, v89
	v_fma_f16 v93, v36, 0xb461, -v99
	v_fmamk_f16 v96, v63, 0xbacd, v97
	v_add_f16_e32 v91, v94, v91
	v_mul_f16_e32 v94, 0x39e9, v60
	v_fma_f16 v98, v34, 0x39e9, -v104
	v_add_f16_e32 v93, v93, v89
	v_fmac_f16_e32 v101, 0xbbf7, v62
	v_add_f16_e32 v89, v96, v92
	v_fmamk_f16 v92, v45, 0x3964, v94
	v_mul_f16_e32 v96, 0x2de8, v59
	v_add_f16_e32 v93, v98, v93
	v_fma_f16 v98, v33, 0x3b76, -v107
	v_add_f16_e32 v91, v101, v91
	v_add_f16_e32 v92, v92, v13
	v_fmamk_f16 v99, v41, 0x3bf7, v96
	v_mul_f16_e32 v100, 0xb8d2, v58
	v_fmac_f16_e32 v102, 0xb836, v65
	v_add_f16_e32 v93, v98, v93
	v_fma_f16 v95, v61, 0x2de8, -v95
	v_add_f16_e32 v92, v99, v92
	v_fmamk_f16 v98, v38, 0x3a62, v100
	v_mul_f16_e32 v99, 0xbbdd, v56
	v_add_f16_e32 v101, v102, v91
	v_add_f16_e32 v91, v95, v93
	v_mul_f16_e32 v93, 0xb964, v57
	v_add_f16_e32 v92, v98, v92
	v_fmamk_f16 v95, v35, 0x31e1, v99
	v_mul_f16_e32 v98, 0xbacd, v54
	v_mul_f16_e32 v103, 0xbbf7, v55
	v_fmamk_f16 v102, v46, 0x39e9, v93
	v_mul_f16_e32 v104, 0xb461, v53
	v_add_f16_e32 v92, v95, v92
	v_fmamk_f16 v95, v32, 0xb836, v98
	v_fmamk_f16 v105, v43, 0x2de8, v103
	v_add_f16_e32 v102, v102, v1
	v_mul_f16_e32 v106, 0xba62, v52
	v_fma_f16 v97, v63, 0xbacd, -v97
	v_add_f16_e32 v92, v95, v92
	v_fmamk_f16 v95, v29, 0xbbb2, v104
	v_mul_f16_e32 v107, 0x3722, v70
	v_add_f16_e32 v102, v105, v102
	v_fmamk_f16 v105, v40, 0xb8d2, v106
	v_mul_f16_e32 v108, 0xb1e1, v51
	v_add_f16_e32 v92, v95, v92
	v_fmamk_f16 v95, v62, 0xbb29, v107
	v_add_f16_e32 v97, v97, v91
	v_add_f16_e32 v91, v105, v102
	v_fmamk_f16 v102, v36, 0xbbdd, v108
	v_mul_f16_e32 v105, 0x3836, v50
	v_fmac_f16_e32 v94, 0xb964, v45
	v_add_f16_e32 v92, v95, v92
	v_mul_f16_e32 v95, 0x3b76, v67
	v_add_f16_e32 v91, v102, v91
	v_fmamk_f16 v102, v34, 0xbacd, v105
	v_mul_f16_e32 v109, 0x3bb2, v48
	v_fmac_f16_e32 v96, 0xbbf7, v41
	v_add_f16_e32 v94, v94, v13
	v_add_f16_e32 v44, v44, v13
	;; [unrolled: 1-line block ×3, first 2 shown]
	v_fmamk_f16 v110, v65, 0xb5c8, v95
	v_add_f16_e32 v102, v102, v91
	v_fmamk_f16 v111, v33, 0xb461, v109
	v_mul_f16_e32 v112, 0x3b29, v64
	v_add_f16_e32 v94, v96, v94
	v_fmac_f16_e32 v100, 0xba62, v38
	v_add_f16_e32 v39, v44, v39
	v_add_f16_e32 v44, v49, v47
	v_add_f16_e32 v91, v110, v92
	v_add_f16_e32 v92, v111, v102
	v_fmamk_f16 v96, v61, 0x3722, v112
	v_mul_f16_e32 v102, 0x35c8, v66
	v_add_f16_e32 v94, v100, v94
	v_fma_f16 v93, v46, 0x39e9, -v93
	v_fmac_f16_e32 v99, 0xb1e1, v35
	v_add_f16_e32 v31, v39, v31
	v_add_f16_e32 v39, v44, v42
	;; [unrolled: 1-line block ×3, first 2 shown]
	v_fmamk_f16 v96, v63, 0x3b76, v102
	v_fma_f16 v100, v43, 0x2de8, -v103
	v_add_f16_e32 v93, v93, v1
	v_add_f16_e32 v94, v99, v94
	v_mul_f16_e32 v99, 0x3b76, v60
	v_add_f16_e32 v27, v31, v27
	v_add_f16_e32 v31, v39, v37
	v_fmac_f16_e32 v98, 0x3836, v32
	v_add_f16_e32 v60, v96, v92
	v_add_f16_e32 v92, v100, v93
	v_fma_f16 v93, v40, 0xb8d2, -v106
	v_fmamk_f16 v96, v45, 0x35c8, v99
	v_mul_f16_e32 v59, 0x39e9, v59
	v_add_f16_e32 v24, v27, v24
	v_add_f16_e32 v27, v31, v30
	v_add_f16_e32 v94, v98, v94
	v_add_f16_e32 v92, v93, v92
	v_fma_f16 v93, v36, 0xbbdd, -v108
	v_add_f16_e32 v96, v96, v13
	v_fmamk_f16 v98, v41, 0x3964, v59
	v_mul_f16_e32 v58, 0x3722, v58
	v_fmac_f16_e32 v99, 0xb5c8, v45
	v_add_f16_e32 v17, v24, v17
	v_add_f16_e32 v24, v27, v28
	;; [unrolled: 1-line block ×3, first 2 shown]
	v_fma_f16 v93, v34, 0xbacd, -v105
	v_add_f16_e32 v96, v98, v96
	v_fmamk_f16 v98, v38, 0x3b29, v58
	v_mul_f16_e32 v56, 0x2de8, v56
	v_fmac_f16_e32 v59, 0xb964, v41
	v_add_f16_e32 v13, v99, v13
	v_add_f16_e32 v15, v17, v15
	;; [unrolled: 1-line block ×4, first 2 shown]
	v_fma_f16 v93, v33, 0xb461, -v109
	v_add_f16_e32 v96, v98, v96
	v_fmamk_f16 v98, v35, 0x3bf7, v56
	v_mul_f16_e32 v54, 0xb461, v54
	v_fmac_f16_e32 v58, 0xbb29, v38
	v_add_f16_e32 v13, v59, v13
	v_add_f16_e32 v14, v15, v14
	;; [unrolled: 1-line block ×3, first 2 shown]
	v_fmac_f16_e32 v104, 0x3bb2, v29
	v_add_f16_e32 v92, v93, v92
	v_fma_f16 v93, v61, 0x3722, -v112
	v_add_f16_e32 v96, v98, v96
	v_fmamk_f16 v98, v32, 0x3bb2, v54
	v_mul_f16_e32 v53, 0xb8d2, v53
	v_mul_f16_e32 v57, 0xb5c8, v57
	v_fmac_f16_e32 v56, 0xbbf7, v35
	v_add_f16_e32 v13, v58, v13
	v_add_f16_e32 v12, v14, v12
	;; [unrolled: 1-line block ×4, first 2 shown]
	v_fmac_f16_e32 v107, 0x3b29, v62
	v_add_f16_e32 v92, v93, v92
	v_add_f16_e32 v93, v98, v96
	v_fmamk_f16 v96, v29, 0x3a62, v53
	v_mul_f16_e32 v70, 0xbacd, v70
	v_fmamk_f16 v98, v46, 0x3b76, v57
	v_mul_f16_e32 v55, 0xb964, v55
	v_fmac_f16_e32 v54, 0xbbb2, v32
	v_add_f16_e32 v13, v56, v13
	v_fma_f16 v15, v46, 0x3b76, -v57
	v_add_f16_e32 v10, v12, v10
	v_add_f16_e32 v12, v14, v22
	;; [unrolled: 1-line block ×3, first 2 shown]
	v_fmac_f16_e32 v95, 0x35c8, v65
	v_fma_f16 v100, v63, 0x3b76, -v102
	v_add_f16_e32 v93, v96, v93
	v_fmamk_f16 v96, v62, 0x3836, v70
	v_add_f16_e32 v98, v98, v1
	v_fmamk_f16 v102, v43, 0x39e9, v55
	v_mul_f16_e32 v52, 0xbb29, v52
	v_fmac_f16_e32 v53, 0xba62, v29
	v_add_f16_e32 v13, v54, v13
	v_fma_f16 v14, v43, 0x39e9, -v55
	v_add_f16_e32 v1, v15, v1
	v_add_f16_e32 v9, v10, v9
	;; [unrolled: 1-line block ×6, first 2 shown]
	v_fmamk_f16 v96, v40, 0x3722, v52
	v_mul_f16_e32 v51, 0xbbf7, v51
	v_fmac_f16_e32 v70, 0xb836, v62
	v_add_f16_e32 v12, v53, v13
	v_fma_f16 v13, v40, 0x3722, -v52
	v_add_f16_e32 v1, v14, v1
	v_add_f16_e32 v8, v9, v8
	;; [unrolled: 1-line block ×4, first 2 shown]
	v_fmamk_f16 v49, v36, 0x2de8, v51
	v_mul_f16_e32 v50, 0xbbb2, v50
	v_add_f16_e32 v10, v70, v12
	v_fma_f16 v12, v36, 0x2de8, -v51
	v_add_f16_e32 v1, v13, v1
	v_add_f16_e32 v7, v8, v7
	v_add_f16_e32 v8, v9, v19
	v_add_f16_e32 v42, v49, v47
	v_mul_f16_e32 v47, 0xba62, v48
	v_fma_f16 v13, v34, 0xb461, -v50
	v_add_f16_e32 v1, v12, v1
	v_add_f16_e32 v12, v7, v6
	;; [unrolled: 1-line block ×3, first 2 shown]
	v_mad_co_u64_u32 v[6:7], null, s12, v11, 0
	v_fmamk_f16 v44, v34, 0xb461, v50
	v_fma_f16 v9, v33, 0xb8d2, -v47
	v_add_f16_e32 v1, v13, v1
	v_add_f16_e32 v5, v12, v5
	;; [unrolled: 1-line block ×4, first 2 shown]
	v_mul_f16_e32 v42, 0xb836, v64
	v_add_f16_e32 v9, v9, v1
	v_add_f16_e32 v4, v5, v4
	v_mul_hi_u32 v5, 0x226b903, v0
	v_add_f16_e32 v2, v8, v2
	v_mov_b32_e32 v1, v7
	v_mul_f16_e32 v28, 0xb1e1, v66
	v_fma_f16 v13, v61, 0xbacd, -v42
	v_mul_f16_e32 v67, 0xbbdd, v67
	v_add_f16_e32 v92, v100, v92
	v_mad_co_u64_u32 v[0:1], null, s13, v11, v[1:2]
	v_and_b32_e32 v2, 0xffff, v2
	v_fma_f16 v12, v63, 0xbbdd, -v28
	v_add_f16_e32 v7, v13, v9
	v_mad_u32_u24 v3, 0x121, v5, v3
	v_lshlrev_b32_e32 v1, 16, v4
	v_fmamk_f16 v95, v65, 0x31e1, v67
	v_fmac_f16_e32 v67, 0xb1e1, v65
	v_add_f16_e32 v9, v12, v7
	v_mov_b32_e32 v7, v0
	v_mul_lo_u32 v0, v3, s14
	v_or_b32_e32 v12, v1, v2
	v_mov_b32_e32 v1, 0
	v_add_f16_e32 v8, v67, v10
	v_pack_b32_f16 v17, v92, v94
	v_pack_b32_f16 v18, v97, v101
	v_fmamk_f16 v39, v33, 0xb8d2, v47
	v_fmamk_f16 v31, v61, 0xbacd, v42
	v_lshlrev_b64_e32 v[4:5], 2, v[0:1]
	s_wait_alu 0xfffe
	v_add_nc_u32_e32 v0, s2, v0
	v_lshlrev_b64_e32 v[2:3], 2, v[6:7]
	v_pack_b32_f16 v16, v9, v8
	v_add_f16_e32 v30, v39, v37
	v_fmamk_f16 v24, v63, 0xbbdd, v28
	v_add_f16_e32 v48, v95, v93
	v_add_co_u32 v14, vcc_lo, s0, v2
	s_wait_alu 0xfffd
	v_add_co_ci_u32_e32 v15, vcc_lo, s1, v3, vcc_lo
	v_lshlrev_b64_e32 v[2:3], 2, v[0:1]
	v_add_nc_u32_e32 v0, s2, v0
	v_add_co_u32 v4, vcc_lo, v14, v4
	s_wait_alu 0xfffd
	v_add_co_ci_u32_e32 v5, vcc_lo, v15, v5, vcc_lo
	s_delay_alu instid0(VALU_DEP_3) | instskip(SKIP_4) | instid1(VALU_DEP_3)
	v_lshlrev_b64_e32 v[6:7], 2, v[0:1]
	v_add_nc_u32_e32 v0, s2, v0
	v_add_co_u32 v2, vcc_lo, v14, v2
	s_wait_alu 0xfffd
	v_add_co_ci_u32_e32 v3, vcc_lo, v15, v3, vcc_lo
	v_lshlrev_b64_e32 v[8:9], 2, v[0:1]
	v_add_nc_u32_e32 v0, s2, v0
	v_add_co_u32 v6, vcc_lo, v14, v6
	s_wait_alu 0xfffd
	v_add_co_ci_u32_e32 v7, vcc_lo, v15, v7, vcc_lo
	s_delay_alu instid0(VALU_DEP_3)
	v_lshlrev_b64_e32 v[10:11], 2, v[0:1]
	v_add_nc_u32_e32 v0, s2, v0
	v_add_co_u32 v8, vcc_lo, v14, v8
	s_wait_alu 0xfffd
	v_add_co_ci_u32_e32 v9, vcc_lo, v15, v9, vcc_lo
	s_clause 0x3
	global_store_b32 v[4:5], v12, off
	global_store_b32 v[2:3], v16, off
	;; [unrolled: 1-line block ×4, first 2 shown]
	v_lshlrev_b64_e32 v[2:3], 2, v[0:1]
	v_add_nc_u32_e32 v0, s2, v0
	v_add_co_u32 v4, vcc_lo, v14, v10
	s_wait_alu 0xfffd
	v_add_co_ci_u32_e32 v5, vcc_lo, v15, v11, vcc_lo
	s_delay_alu instid0(VALU_DEP_3) | instskip(SKIP_4) | instid1(VALU_DEP_3)
	v_lshlrev_b64_e32 v[6:7], 2, v[0:1]
	v_add_nc_u32_e32 v0, s2, v0
	v_add_co_u32 v2, vcc_lo, v14, v2
	s_wait_alu 0xfffd
	v_add_co_ci_u32_e32 v3, vcc_lo, v15, v3, vcc_lo
	v_lshlrev_b64_e32 v[8:9], 2, v[0:1]
	v_add_nc_u32_e32 v0, s2, v0
	v_add_co_u32 v6, vcc_lo, v14, v6
	v_pack_b32_f16 v12, v90, v88
	s_wait_alu 0xfffd
	v_add_co_ci_u32_e32 v7, vcc_lo, v15, v7, vcc_lo
	v_lshlrev_b64_e32 v[10:11], 2, v[0:1]
	v_add_nc_u32_e32 v0, s2, v0
	v_pack_b32_f16 v16, v86, v84
	v_add_co_u32 v8, vcc_lo, v14, v8
	v_pack_b32_f16 v17, v81, v80
	s_wait_alu 0xfffd
	v_add_co_ci_u32_e32 v9, vcc_lo, v15, v9, vcc_lo
	v_pack_b32_f16 v18, v78, v77
	s_clause 0x3
	global_store_b32 v[4:5], v12, off
	global_store_b32 v[2:3], v16, off
	;; [unrolled: 1-line block ×4, first 2 shown]
	v_lshlrev_b64_e32 v[2:3], 2, v[0:1]
	v_add_nc_u32_e32 v0, s2, v0
	v_add_co_u32 v4, vcc_lo, v14, v10
	s_wait_alu 0xfffd
	v_add_co_ci_u32_e32 v5, vcc_lo, v15, v11, vcc_lo
	s_delay_alu instid0(VALU_DEP_3) | instskip(SKIP_4) | instid1(VALU_DEP_3)
	v_lshlrev_b64_e32 v[6:7], 2, v[0:1]
	v_add_nc_u32_e32 v0, s2, v0
	v_add_co_u32 v2, vcc_lo, v14, v2
	s_wait_alu 0xfffd
	v_add_co_ci_u32_e32 v3, vcc_lo, v15, v3, vcc_lo
	v_lshlrev_b64_e32 v[8:9], 2, v[0:1]
	v_add_nc_u32_e32 v0, s2, v0
	v_add_co_u32 v6, vcc_lo, v14, v6
	v_pack_b32_f16 v12, v76, v75
	s_wait_alu 0xfffd
	v_add_co_ci_u32_e32 v7, vcc_lo, v15, v7, vcc_lo
	v_lshlrev_b64_e32 v[10:11], 2, v[0:1]
	v_add_nc_u32_e32 v0, s2, v0
	v_pack_b32_f16 v16, v74, v73
	v_add_co_u32 v8, vcc_lo, v14, v8
	v_pack_b32_f16 v17, v72, v71
	s_wait_alu 0xfffd
	v_add_co_ci_u32_e32 v9, vcc_lo, v15, v9, vcc_lo
	v_pack_b32_f16 v18, v69, v68
	s_clause 0x3
	global_store_b32 v[4:5], v12, off
	global_store_b32 v[2:3], v16, off
	;; [unrolled: 1-line block ×4, first 2 shown]
	v_lshlrev_b64_e32 v[2:3], 2, v[0:1]
	v_add_nc_u32_e32 v0, s2, v0
	v_add_co_u32 v4, vcc_lo, v14, v10
	s_wait_alu 0xfffd
	v_add_co_ci_u32_e32 v5, vcc_lo, v15, v11, vcc_lo
	s_delay_alu instid0(VALU_DEP_3)
	v_lshlrev_b64_e32 v[6:7], 2, v[0:1]
	v_add_nc_u32_e32 v0, s2, v0
	v_add_co_u32 v2, vcc_lo, v14, v2
	v_add_f16_e32 v27, v31, v30
	s_wait_alu 0xfffd
	v_add_co_ci_u32_e32 v3, vcc_lo, v15, v3, vcc_lo
	v_lshlrev_b64_e32 v[8:9], 2, v[0:1]
	v_add_nc_u32_e32 v0, s2, v0
	v_add_co_u32 v6, vcc_lo, v14, v6
	s_wait_alu 0xfffd
	v_add_co_ci_u32_e32 v7, vcc_lo, v15, v7, vcc_lo
	s_delay_alu instid0(VALU_DEP_3)
	v_lshlrev_b64_e32 v[0:1], 2, v[0:1]
	v_add_f16_e32 v13, v24, v27
	v_add_co_u32 v8, vcc_lo, v14, v8
	v_pack_b32_f16 v10, v82, v79
	v_pack_b32_f16 v11, v85, v83
	s_wait_alu 0xfffd
	v_add_co_ci_u32_e32 v9, vcc_lo, v15, v9, vcc_lo
	v_pack_b32_f16 v12, v89, v87
	v_add_co_u32 v0, vcc_lo, v14, v0
	v_pack_b32_f16 v16, v60, v91
	s_wait_alu 0xfffd
	v_add_co_ci_u32_e32 v1, vcc_lo, v15, v1, vcc_lo
	v_pack_b32_f16 v13, v13, v48
	s_clause 0x4
	global_store_b32 v[4:5], v10, off
	global_store_b32 v[2:3], v11, off
	;; [unrolled: 1-line block ×5, first 2 shown]
.LBB0_18:
	s_nop 0
	s_sendmsg sendmsg(MSG_DEALLOC_VGPRS)
	s_endpgm
	.section	.rodata,"a",@progbits
	.p2align	6, 0x0
	.amdhsa_kernel fft_rtc_fwd_len289_factors_17_17_wgs_119_tpt_17_half_op_CI_CI_sbrc_unaligned_dirReg
		.amdhsa_group_segment_fixed_size 0
		.amdhsa_private_segment_fixed_size 0
		.amdhsa_kernarg_size 104
		.amdhsa_user_sgpr_count 2
		.amdhsa_user_sgpr_dispatch_ptr 0
		.amdhsa_user_sgpr_queue_ptr 0
		.amdhsa_user_sgpr_kernarg_segment_ptr 1
		.amdhsa_user_sgpr_dispatch_id 0
		.amdhsa_user_sgpr_private_segment_size 0
		.amdhsa_wavefront_size32 1
		.amdhsa_uses_dynamic_stack 0
		.amdhsa_enable_private_segment 0
		.amdhsa_system_sgpr_workgroup_id_x 1
		.amdhsa_system_sgpr_workgroup_id_y 0
		.amdhsa_system_sgpr_workgroup_id_z 0
		.amdhsa_system_sgpr_workgroup_info 0
		.amdhsa_system_vgpr_workitem_id 0
		.amdhsa_next_free_vgpr 116
		.amdhsa_next_free_sgpr 52
		.amdhsa_reserve_vcc 1
		.amdhsa_float_round_mode_32 0
		.amdhsa_float_round_mode_16_64 0
		.amdhsa_float_denorm_mode_32 3
		.amdhsa_float_denorm_mode_16_64 3
		.amdhsa_fp16_overflow 0
		.amdhsa_workgroup_processor_mode 1
		.amdhsa_memory_ordered 1
		.amdhsa_forward_progress 0
		.amdhsa_round_robin_scheduling 0
		.amdhsa_exception_fp_ieee_invalid_op 0
		.amdhsa_exception_fp_denorm_src 0
		.amdhsa_exception_fp_ieee_div_zero 0
		.amdhsa_exception_fp_ieee_overflow 0
		.amdhsa_exception_fp_ieee_underflow 0
		.amdhsa_exception_fp_ieee_inexact 0
		.amdhsa_exception_int_div_zero 0
	.end_amdhsa_kernel
	.text
.Lfunc_end0:
	.size	fft_rtc_fwd_len289_factors_17_17_wgs_119_tpt_17_half_op_CI_CI_sbrc_unaligned_dirReg, .Lfunc_end0-fft_rtc_fwd_len289_factors_17_17_wgs_119_tpt_17_half_op_CI_CI_sbrc_unaligned_dirReg
                                        ; -- End function
	.section	.AMDGPU.csdata,"",@progbits
; Kernel info:
; codeLenInByte = 16400
; NumSgprs: 54
; NumVgprs: 116
; ScratchSize: 0
; MemoryBound: 0
; FloatMode: 240
; IeeeMode: 1
; LDSByteSize: 0 bytes/workgroup (compile time only)
; SGPRBlocks: 6
; VGPRBlocks: 14
; NumSGPRsForWavesPerEU: 54
; NumVGPRsForWavesPerEU: 116
; Occupancy: 12
; WaveLimiterHint : 1
; COMPUTE_PGM_RSRC2:SCRATCH_EN: 0
; COMPUTE_PGM_RSRC2:USER_SGPR: 2
; COMPUTE_PGM_RSRC2:TRAP_HANDLER: 0
; COMPUTE_PGM_RSRC2:TGID_X_EN: 1
; COMPUTE_PGM_RSRC2:TGID_Y_EN: 0
; COMPUTE_PGM_RSRC2:TGID_Z_EN: 0
; COMPUTE_PGM_RSRC2:TIDIG_COMP_CNT: 0
	.text
	.p2alignl 7, 3214868480
	.fill 96, 4, 3214868480
	.type	__hip_cuid_382b3dddd571dee1,@object ; @__hip_cuid_382b3dddd571dee1
	.section	.bss,"aw",@nobits
	.globl	__hip_cuid_382b3dddd571dee1
__hip_cuid_382b3dddd571dee1:
	.byte	0                               ; 0x0
	.size	__hip_cuid_382b3dddd571dee1, 1

	.ident	"AMD clang version 19.0.0git (https://github.com/RadeonOpenCompute/llvm-project roc-6.4.0 25133 c7fe45cf4b819c5991fe208aaa96edf142730f1d)"
	.section	".note.GNU-stack","",@progbits
	.addrsig
	.addrsig_sym __hip_cuid_382b3dddd571dee1
	.amdgpu_metadata
---
amdhsa.kernels:
  - .args:
      - .actual_access:  read_only
        .address_space:  global
        .offset:         0
        .size:           8
        .value_kind:     global_buffer
      - .offset:         8
        .size:           8
        .value_kind:     by_value
      - .actual_access:  read_only
        .address_space:  global
        .offset:         16
        .size:           8
        .value_kind:     global_buffer
      - .actual_access:  read_only
        .address_space:  global
        .offset:         24
        .size:           8
        .value_kind:     global_buffer
      - .actual_access:  read_only
        .address_space:  global
        .offset:         32
        .size:           8
        .value_kind:     global_buffer
      - .offset:         40
        .size:           8
        .value_kind:     by_value
      - .actual_access:  read_only
        .address_space:  global
        .offset:         48
        .size:           8
        .value_kind:     global_buffer
      - .actual_access:  read_only
        .address_space:  global
        .offset:         56
        .size:           8
        .value_kind:     global_buffer
      - .offset:         64
        .size:           4
        .value_kind:     by_value
      - .actual_access:  read_only
        .address_space:  global
        .offset:         72
        .size:           8
        .value_kind:     global_buffer
      - .actual_access:  read_only
        .address_space:  global
        .offset:         80
        .size:           8
        .value_kind:     global_buffer
      - .actual_access:  read_only
        .address_space:  global
        .offset:         88
        .size:           8
        .value_kind:     global_buffer
      - .actual_access:  write_only
        .address_space:  global
        .offset:         96
        .size:           8
        .value_kind:     global_buffer
    .group_segment_fixed_size: 0
    .kernarg_segment_align: 8
    .kernarg_segment_size: 104
    .language:       OpenCL C
    .language_version:
      - 2
      - 0
    .max_flat_workgroup_size: 119
    .name:           fft_rtc_fwd_len289_factors_17_17_wgs_119_tpt_17_half_op_CI_CI_sbrc_unaligned_dirReg
    .private_segment_fixed_size: 0
    .sgpr_count:     54
    .sgpr_spill_count: 0
    .symbol:         fft_rtc_fwd_len289_factors_17_17_wgs_119_tpt_17_half_op_CI_CI_sbrc_unaligned_dirReg.kd
    .uniform_work_group_size: 1
    .uses_dynamic_stack: false
    .vgpr_count:     116
    .vgpr_spill_count: 0
    .wavefront_size: 32
    .workgroup_processor_mode: 1
amdhsa.target:   amdgcn-amd-amdhsa--gfx1201
amdhsa.version:
  - 1
  - 2
...

	.end_amdgpu_metadata
